;; amdgpu-corpus repo=ROCm/rocSPARSE kind=compiled arch=gfx1030 opt=O3
	.amdgcn_target "amdgcn-amd-amdhsa--gfx1030"
	.amdhsa_code_object_version 6
	.section	.text._ZN9rocsparseL34csrgemm_symbolic_max_row_nnz_part1ILj256EiiEEvT1_PKT0_PS1_,"axG",@progbits,_ZN9rocsparseL34csrgemm_symbolic_max_row_nnz_part1ILj256EiiEEvT1_PKT0_PS1_,comdat
	.globl	_ZN9rocsparseL34csrgemm_symbolic_max_row_nnz_part1ILj256EiiEEvT1_PKT0_PS1_ ; -- Begin function _ZN9rocsparseL34csrgemm_symbolic_max_row_nnz_part1ILj256EiiEEvT1_PKT0_PS1_
	.p2align	8
	.type	_ZN9rocsparseL34csrgemm_symbolic_max_row_nnz_part1ILj256EiiEEvT1_PKT0_PS1_,@function
_ZN9rocsparseL34csrgemm_symbolic_max_row_nnz_part1ILj256EiiEEvT1_PKT0_PS1_: ; @_ZN9rocsparseL34csrgemm_symbolic_max_row_nnz_part1ILj256EiiEEvT1_PKT0_PS1_
; %bb.0:
	s_clause 0x1
	s_load_dword s7, s[4:5], 0x0
	s_load_dwordx2 s[0:1], s[4:5], 0x10
	v_lshl_or_b32 v1, s6, 8, v0
	v_mov_b32_e32 v3, 0
	s_mov_b32 s8, exec_lo
	s_waitcnt lgkmcnt(0)
	v_cmpx_gt_i32_e64 s7, v1
	s_cbranch_execz .LBB0_4
; %bb.1:
	s_clause 0x1
	s_load_dword s9, s[4:5], 0x18
	s_load_dwordx2 s[2:3], s[4:5], 0x8
	v_mov_b32_e32 v3, 0
	s_mov_b32 s4, 0
	s_waitcnt lgkmcnt(0)
	s_lshl_b32 s5, s9, 8
.LBB0_2:                                ; =>This Inner Loop Header: Depth=1
	v_ashrrev_i32_e32 v2, 31, v1
	v_lshlrev_b64 v[4:5], 2, v[1:2]
	v_add_nc_u32_e32 v1, s5, v1
	v_add_co_u32 v4, vcc_lo, s2, v4
	v_add_co_ci_u32_e64 v5, null, s3, v5, vcc_lo
	v_cmp_le_i32_e32 vcc_lo, s7, v1
	global_load_dwordx2 v[4:5], v[4:5], off
	s_or_b32 s4, vcc_lo, s4
	s_waitcnt vmcnt(0)
	v_sub_nc_u32_e32 v2, v5, v4
	v_max_i32_e32 v3, v3, v2
	s_andn2_b32 exec_lo, exec_lo, s4
	s_cbranch_execnz .LBB0_2
; %bb.3:
	s_or_b32 exec_lo, exec_lo, s4
.LBB0_4:
	s_or_b32 exec_lo, exec_lo, s8
	v_lshlrev_b32_e32 v1, 2, v0
	s_mov_b32 s2, exec_lo
	ds_write_b32 v1, v3
	s_waitcnt lgkmcnt(0)
	s_barrier
	buffer_gl0_inv
	v_cmpx_gt_u32_e32 0x80, v0
	s_cbranch_execz .LBB0_6
; %bb.5:
	ds_read2st64_b32 v[2:3], v1 offset1:2
	s_waitcnt lgkmcnt(0)
	v_max_i32_e32 v2, v2, v3
	ds_write_b32 v1, v2
.LBB0_6:
	s_or_b32 exec_lo, exec_lo, s2
	s_mov_b32 s2, exec_lo
	s_waitcnt lgkmcnt(0)
	s_barrier
	buffer_gl0_inv
	v_cmpx_gt_u32_e32 64, v0
	s_cbranch_execz .LBB0_8
; %bb.7:
	ds_read2st64_b32 v[2:3], v1 offset1:1
	s_waitcnt lgkmcnt(0)
	v_max_i32_e32 v2, v2, v3
	ds_write_b32 v1, v2
.LBB0_8:
	s_or_b32 exec_lo, exec_lo, s2
	s_mov_b32 s2, exec_lo
	s_waitcnt lgkmcnt(0)
	s_barrier
	buffer_gl0_inv
	v_cmpx_gt_u32_e32 32, v0
	s_cbranch_execz .LBB0_10
; %bb.9:
	ds_read2_b32 v[2:3], v1 offset1:32
	s_waitcnt lgkmcnt(0)
	v_max_i32_e32 v2, v2, v3
	ds_write_b32 v1, v2
.LBB0_10:
	s_or_b32 exec_lo, exec_lo, s2
	s_mov_b32 s2, exec_lo
	s_waitcnt lgkmcnt(0)
	s_barrier
	buffer_gl0_inv
	v_cmpx_gt_u32_e32 16, v0
	s_cbranch_execz .LBB0_12
; %bb.11:
	ds_read2_b32 v[2:3], v1 offset1:16
	s_waitcnt lgkmcnt(0)
	v_max_i32_e32 v2, v2, v3
	ds_write_b32 v1, v2
.LBB0_12:
	s_or_b32 exec_lo, exec_lo, s2
	s_mov_b32 s2, exec_lo
	s_waitcnt lgkmcnt(0)
	s_barrier
	buffer_gl0_inv
	v_cmpx_gt_u32_e32 8, v0
	s_cbranch_execz .LBB0_14
; %bb.13:
	ds_read2_b32 v[2:3], v1 offset1:8
	s_waitcnt lgkmcnt(0)
	v_max_i32_e32 v2, v2, v3
	ds_write_b32 v1, v2
.LBB0_14:
	s_or_b32 exec_lo, exec_lo, s2
	s_mov_b32 s2, exec_lo
	s_waitcnt lgkmcnt(0)
	s_barrier
	buffer_gl0_inv
	v_cmpx_gt_u32_e32 4, v0
	s_cbranch_execz .LBB0_16
; %bb.15:
	ds_read2_b32 v[2:3], v1 offset1:4
	s_waitcnt lgkmcnt(0)
	v_max_i32_e32 v2, v2, v3
	ds_write_b32 v1, v2
.LBB0_16:
	s_or_b32 exec_lo, exec_lo, s2
	s_mov_b32 s2, exec_lo
	s_waitcnt lgkmcnt(0)
	s_barrier
	buffer_gl0_inv
	v_cmpx_gt_u32_e32 2, v0
	s_cbranch_execz .LBB0_18
; %bb.17:
	ds_read2_b32 v[2:3], v1 offset1:2
	s_waitcnt lgkmcnt(0)
	v_max_i32_e32 v2, v2, v3
	ds_write_b32 v1, v2
.LBB0_18:
	s_or_b32 exec_lo, exec_lo, s2
	v_cmp_eq_u32_e32 vcc_lo, 0, v0
	s_waitcnt lgkmcnt(0)
	s_barrier
	buffer_gl0_inv
	s_and_saveexec_b32 s2, vcc_lo
	s_cbranch_execz .LBB0_20
; %bb.19:
	v_mov_b32_e32 v2, 0
	ds_read_b64 v[0:1], v2
	s_waitcnt lgkmcnt(0)
	v_max_i32_e32 v0, v0, v1
	ds_write_b32 v2, v0
.LBB0_20:
	s_or_b32 exec_lo, exec_lo, s2
	s_waitcnt lgkmcnt(0)
	s_barrier
	buffer_gl0_inv
	s_and_saveexec_b32 s2, vcc_lo
	s_cbranch_execz .LBB0_22
; %bb.21:
	v_mov_b32_e32 v0, 0
	s_mov_b32 s7, 0
	s_lshl_b64 s[2:3], s[6:7], 2
	s_add_u32 s0, s0, s2
	ds_read_b32 v1, v0
	s_addc_u32 s1, s1, s3
	s_waitcnt lgkmcnt(0)
	global_store_dword v0, v1, s[0:1]
.LBB0_22:
	s_endpgm
	.section	.rodata,"a",@progbits
	.p2align	6, 0x0
	.amdhsa_kernel _ZN9rocsparseL34csrgemm_symbolic_max_row_nnz_part1ILj256EiiEEvT1_PKT0_PS1_
		.amdhsa_group_segment_fixed_size 1024
		.amdhsa_private_segment_fixed_size 0
		.amdhsa_kernarg_size 280
		.amdhsa_user_sgpr_count 6
		.amdhsa_user_sgpr_private_segment_buffer 1
		.amdhsa_user_sgpr_dispatch_ptr 0
		.amdhsa_user_sgpr_queue_ptr 0
		.amdhsa_user_sgpr_kernarg_segment_ptr 1
		.amdhsa_user_sgpr_dispatch_id 0
		.amdhsa_user_sgpr_flat_scratch_init 0
		.amdhsa_user_sgpr_private_segment_size 0
		.amdhsa_wavefront_size32 1
		.amdhsa_uses_dynamic_stack 0
		.amdhsa_system_sgpr_private_segment_wavefront_offset 0
		.amdhsa_system_sgpr_workgroup_id_x 1
		.amdhsa_system_sgpr_workgroup_id_y 0
		.amdhsa_system_sgpr_workgroup_id_z 0
		.amdhsa_system_sgpr_workgroup_info 0
		.amdhsa_system_vgpr_workitem_id 0
		.amdhsa_next_free_vgpr 6
		.amdhsa_next_free_sgpr 10
		.amdhsa_reserve_vcc 1
		.amdhsa_reserve_flat_scratch 0
		.amdhsa_float_round_mode_32 0
		.amdhsa_float_round_mode_16_64 0
		.amdhsa_float_denorm_mode_32 3
		.amdhsa_float_denorm_mode_16_64 3
		.amdhsa_dx10_clamp 1
		.amdhsa_ieee_mode 1
		.amdhsa_fp16_overflow 0
		.amdhsa_workgroup_processor_mode 1
		.amdhsa_memory_ordered 1
		.amdhsa_forward_progress 1
		.amdhsa_shared_vgpr_count 0
		.amdhsa_exception_fp_ieee_invalid_op 0
		.amdhsa_exception_fp_denorm_src 0
		.amdhsa_exception_fp_ieee_div_zero 0
		.amdhsa_exception_fp_ieee_overflow 0
		.amdhsa_exception_fp_ieee_underflow 0
		.amdhsa_exception_fp_ieee_inexact 0
		.amdhsa_exception_int_div_zero 0
	.end_amdhsa_kernel
	.section	.text._ZN9rocsparseL34csrgemm_symbolic_max_row_nnz_part1ILj256EiiEEvT1_PKT0_PS1_,"axG",@progbits,_ZN9rocsparseL34csrgemm_symbolic_max_row_nnz_part1ILj256EiiEEvT1_PKT0_PS1_,comdat
.Lfunc_end0:
	.size	_ZN9rocsparseL34csrgemm_symbolic_max_row_nnz_part1ILj256EiiEEvT1_PKT0_PS1_, .Lfunc_end0-_ZN9rocsparseL34csrgemm_symbolic_max_row_nnz_part1ILj256EiiEEvT1_PKT0_PS1_
                                        ; -- End function
	.set _ZN9rocsparseL34csrgemm_symbolic_max_row_nnz_part1ILj256EiiEEvT1_PKT0_PS1_.num_vgpr, 6
	.set _ZN9rocsparseL34csrgemm_symbolic_max_row_nnz_part1ILj256EiiEEvT1_PKT0_PS1_.num_agpr, 0
	.set _ZN9rocsparseL34csrgemm_symbolic_max_row_nnz_part1ILj256EiiEEvT1_PKT0_PS1_.numbered_sgpr, 10
	.set _ZN9rocsparseL34csrgemm_symbolic_max_row_nnz_part1ILj256EiiEEvT1_PKT0_PS1_.num_named_barrier, 0
	.set _ZN9rocsparseL34csrgemm_symbolic_max_row_nnz_part1ILj256EiiEEvT1_PKT0_PS1_.private_seg_size, 0
	.set _ZN9rocsparseL34csrgemm_symbolic_max_row_nnz_part1ILj256EiiEEvT1_PKT0_PS1_.uses_vcc, 1
	.set _ZN9rocsparseL34csrgemm_symbolic_max_row_nnz_part1ILj256EiiEEvT1_PKT0_PS1_.uses_flat_scratch, 0
	.set _ZN9rocsparseL34csrgemm_symbolic_max_row_nnz_part1ILj256EiiEEvT1_PKT0_PS1_.has_dyn_sized_stack, 0
	.set _ZN9rocsparseL34csrgemm_symbolic_max_row_nnz_part1ILj256EiiEEvT1_PKT0_PS1_.has_recursion, 0
	.set _ZN9rocsparseL34csrgemm_symbolic_max_row_nnz_part1ILj256EiiEEvT1_PKT0_PS1_.has_indirect_call, 0
	.section	.AMDGPU.csdata,"",@progbits
; Kernel info:
; codeLenInByte = 700
; TotalNumSgprs: 12
; NumVgprs: 6
; ScratchSize: 0
; MemoryBound: 0
; FloatMode: 240
; IeeeMode: 1
; LDSByteSize: 1024 bytes/workgroup (compile time only)
; SGPRBlocks: 0
; VGPRBlocks: 0
; NumSGPRsForWavesPerEU: 12
; NumVGPRsForWavesPerEU: 6
; Occupancy: 16
; WaveLimiterHint : 0
; COMPUTE_PGM_RSRC2:SCRATCH_EN: 0
; COMPUTE_PGM_RSRC2:USER_SGPR: 6
; COMPUTE_PGM_RSRC2:TRAP_HANDLER: 0
; COMPUTE_PGM_RSRC2:TGID_X_EN: 1
; COMPUTE_PGM_RSRC2:TGID_Y_EN: 0
; COMPUTE_PGM_RSRC2:TGID_Z_EN: 0
; COMPUTE_PGM_RSRC2:TIDIG_COMP_CNT: 0
	.section	.text._ZN9rocsparseL34csrgemm_symbolic_max_row_nnz_part2ILj256EiEEvPT0_,"axG",@progbits,_ZN9rocsparseL34csrgemm_symbolic_max_row_nnz_part2ILj256EiEEvPT0_,comdat
	.globl	_ZN9rocsparseL34csrgemm_symbolic_max_row_nnz_part2ILj256EiEEvPT0_ ; -- Begin function _ZN9rocsparseL34csrgemm_symbolic_max_row_nnz_part2ILj256EiEEvPT0_
	.p2align	8
	.type	_ZN9rocsparseL34csrgemm_symbolic_max_row_nnz_part2ILj256EiEEvPT0_,@function
_ZN9rocsparseL34csrgemm_symbolic_max_row_nnz_part2ILj256EiEEvPT0_: ; @_ZN9rocsparseL34csrgemm_symbolic_max_row_nnz_part2ILj256EiEEvPT0_
; %bb.0:
	s_load_dwordx2 s[0:1], s[4:5], 0x0
	v_lshlrev_b32_e32 v1, 2, v0
	s_mov_b32 s2, exec_lo
	s_waitcnt lgkmcnt(0)
	global_load_dword v2, v1, s[0:1]
	s_waitcnt vmcnt(0)
	ds_write_b32 v1, v2
	s_waitcnt lgkmcnt(0)
	s_barrier
	buffer_gl0_inv
	v_cmpx_gt_u32_e32 0x80, v0
	s_cbranch_execz .LBB1_2
; %bb.1:
	ds_read2st64_b32 v[2:3], v1 offset1:2
	s_waitcnt lgkmcnt(0)
	v_max_i32_e32 v2, v2, v3
	ds_write_b32 v1, v2
.LBB1_2:
	s_or_b32 exec_lo, exec_lo, s2
	s_mov_b32 s2, exec_lo
	s_waitcnt lgkmcnt(0)
	s_barrier
	buffer_gl0_inv
	v_cmpx_gt_u32_e32 64, v0
	s_cbranch_execz .LBB1_4
; %bb.3:
	ds_read2st64_b32 v[2:3], v1 offset1:1
	s_waitcnt lgkmcnt(0)
	v_max_i32_e32 v2, v2, v3
	ds_write_b32 v1, v2
.LBB1_4:
	s_or_b32 exec_lo, exec_lo, s2
	s_mov_b32 s2, exec_lo
	s_waitcnt lgkmcnt(0)
	s_barrier
	buffer_gl0_inv
	v_cmpx_gt_u32_e32 32, v0
	s_cbranch_execz .LBB1_6
; %bb.5:
	ds_read2_b32 v[2:3], v1 offset1:32
	s_waitcnt lgkmcnt(0)
	v_max_i32_e32 v2, v2, v3
	ds_write_b32 v1, v2
.LBB1_6:
	s_or_b32 exec_lo, exec_lo, s2
	s_mov_b32 s2, exec_lo
	s_waitcnt lgkmcnt(0)
	s_barrier
	buffer_gl0_inv
	v_cmpx_gt_u32_e32 16, v0
	s_cbranch_execz .LBB1_8
; %bb.7:
	ds_read2_b32 v[2:3], v1 offset1:16
	s_waitcnt lgkmcnt(0)
	v_max_i32_e32 v2, v2, v3
	ds_write_b32 v1, v2
.LBB1_8:
	;; [unrolled: 13-line block ×5, first 2 shown]
	s_or_b32 exec_lo, exec_lo, s2
	v_cmp_eq_u32_e32 vcc_lo, 0, v0
	s_waitcnt lgkmcnt(0)
	s_barrier
	buffer_gl0_inv
	s_and_saveexec_b32 s2, vcc_lo
	s_cbranch_execz .LBB1_16
; %bb.15:
	v_mov_b32_e32 v2, 0
	ds_read_b64 v[0:1], v2
	s_waitcnt lgkmcnt(0)
	v_max_i32_e32 v0, v0, v1
	ds_write_b32 v2, v0
.LBB1_16:
	s_or_b32 exec_lo, exec_lo, s2
	s_waitcnt lgkmcnt(0)
	s_barrier
	buffer_gl0_inv
	s_and_saveexec_b32 s2, vcc_lo
	s_cbranch_execz .LBB1_18
; %bb.17:
	v_mov_b32_e32 v0, 0
	ds_read_b32 v1, v0
	s_waitcnt lgkmcnt(0)
	global_store_dword v0, v1, s[0:1]
.LBB1_18:
	s_endpgm
	.section	.rodata,"a",@progbits
	.p2align	6, 0x0
	.amdhsa_kernel _ZN9rocsparseL34csrgemm_symbolic_max_row_nnz_part2ILj256EiEEvPT0_
		.amdhsa_group_segment_fixed_size 1024
		.amdhsa_private_segment_fixed_size 0
		.amdhsa_kernarg_size 8
		.amdhsa_user_sgpr_count 6
		.amdhsa_user_sgpr_private_segment_buffer 1
		.amdhsa_user_sgpr_dispatch_ptr 0
		.amdhsa_user_sgpr_queue_ptr 0
		.amdhsa_user_sgpr_kernarg_segment_ptr 1
		.amdhsa_user_sgpr_dispatch_id 0
		.amdhsa_user_sgpr_flat_scratch_init 0
		.amdhsa_user_sgpr_private_segment_size 0
		.amdhsa_wavefront_size32 1
		.amdhsa_uses_dynamic_stack 0
		.amdhsa_system_sgpr_private_segment_wavefront_offset 0
		.amdhsa_system_sgpr_workgroup_id_x 1
		.amdhsa_system_sgpr_workgroup_id_y 0
		.amdhsa_system_sgpr_workgroup_id_z 0
		.amdhsa_system_sgpr_workgroup_info 0
		.amdhsa_system_vgpr_workitem_id 0
		.amdhsa_next_free_vgpr 4
		.amdhsa_next_free_sgpr 6
		.amdhsa_reserve_vcc 1
		.amdhsa_reserve_flat_scratch 0
		.amdhsa_float_round_mode_32 0
		.amdhsa_float_round_mode_16_64 0
		.amdhsa_float_denorm_mode_32 3
		.amdhsa_float_denorm_mode_16_64 3
		.amdhsa_dx10_clamp 1
		.amdhsa_ieee_mode 1
		.amdhsa_fp16_overflow 0
		.amdhsa_workgroup_processor_mode 1
		.amdhsa_memory_ordered 1
		.amdhsa_forward_progress 1
		.amdhsa_shared_vgpr_count 0
		.amdhsa_exception_fp_ieee_invalid_op 0
		.amdhsa_exception_fp_denorm_src 0
		.amdhsa_exception_fp_ieee_div_zero 0
		.amdhsa_exception_fp_ieee_overflow 0
		.amdhsa_exception_fp_ieee_underflow 0
		.amdhsa_exception_fp_ieee_inexact 0
		.amdhsa_exception_int_div_zero 0
	.end_amdhsa_kernel
	.section	.text._ZN9rocsparseL34csrgemm_symbolic_max_row_nnz_part2ILj256EiEEvPT0_,"axG",@progbits,_ZN9rocsparseL34csrgemm_symbolic_max_row_nnz_part2ILj256EiEEvPT0_,comdat
.Lfunc_end1:
	.size	_ZN9rocsparseL34csrgemm_symbolic_max_row_nnz_part2ILj256EiEEvPT0_, .Lfunc_end1-_ZN9rocsparseL34csrgemm_symbolic_max_row_nnz_part2ILj256EiEEvPT0_
                                        ; -- End function
	.set _ZN9rocsparseL34csrgemm_symbolic_max_row_nnz_part2ILj256EiEEvPT0_.num_vgpr, 4
	.set _ZN9rocsparseL34csrgemm_symbolic_max_row_nnz_part2ILj256EiEEvPT0_.num_agpr, 0
	.set _ZN9rocsparseL34csrgemm_symbolic_max_row_nnz_part2ILj256EiEEvPT0_.numbered_sgpr, 6
	.set _ZN9rocsparseL34csrgemm_symbolic_max_row_nnz_part2ILj256EiEEvPT0_.num_named_barrier, 0
	.set _ZN9rocsparseL34csrgemm_symbolic_max_row_nnz_part2ILj256EiEEvPT0_.private_seg_size, 0
	.set _ZN9rocsparseL34csrgemm_symbolic_max_row_nnz_part2ILj256EiEEvPT0_.uses_vcc, 1
	.set _ZN9rocsparseL34csrgemm_symbolic_max_row_nnz_part2ILj256EiEEvPT0_.uses_flat_scratch, 0
	.set _ZN9rocsparseL34csrgemm_symbolic_max_row_nnz_part2ILj256EiEEvPT0_.has_dyn_sized_stack, 0
	.set _ZN9rocsparseL34csrgemm_symbolic_max_row_nnz_part2ILj256EiEEvPT0_.has_recursion, 0
	.set _ZN9rocsparseL34csrgemm_symbolic_max_row_nnz_part2ILj256EiEEvPT0_.has_indirect_call, 0
	.section	.AMDGPU.csdata,"",@progbits
; Kernel info:
; codeLenInByte = 544
; TotalNumSgprs: 8
; NumVgprs: 4
; ScratchSize: 0
; MemoryBound: 0
; FloatMode: 240
; IeeeMode: 1
; LDSByteSize: 1024 bytes/workgroup (compile time only)
; SGPRBlocks: 0
; VGPRBlocks: 0
; NumSGPRsForWavesPerEU: 8
; NumVGPRsForWavesPerEU: 4
; Occupancy: 16
; WaveLimiterHint : 0
; COMPUTE_PGM_RSRC2:SCRATCH_EN: 0
; COMPUTE_PGM_RSRC2:USER_SGPR: 6
; COMPUTE_PGM_RSRC2:TRAP_HANDLER: 0
; COMPUTE_PGM_RSRC2:TGID_X_EN: 1
; COMPUTE_PGM_RSRC2:TGID_Y_EN: 0
; COMPUTE_PGM_RSRC2:TGID_Z_EN: 0
; COMPUTE_PGM_RSRC2:TIDIG_COMP_CNT: 0
	.section	.text._ZN9rocsparseL35csrgemm_symbolic_group_reduce_part2ILj256ELj11EiiEEvT2_PKT1_PS1_Pij,"axG",@progbits,_ZN9rocsparseL35csrgemm_symbolic_group_reduce_part2ILj256ELj11EiiEEvT2_PKT1_PS1_Pij,comdat
	.globl	_ZN9rocsparseL35csrgemm_symbolic_group_reduce_part2ILj256ELj11EiiEEvT2_PKT1_PS1_Pij ; -- Begin function _ZN9rocsparseL35csrgemm_symbolic_group_reduce_part2ILj256ELj11EiiEEvT2_PKT1_PS1_Pij
	.p2align	8
	.type	_ZN9rocsparseL35csrgemm_symbolic_group_reduce_part2ILj256ELj11EiiEEvT2_PKT1_PS1_Pij,@function
_ZN9rocsparseL35csrgemm_symbolic_group_reduce_part2ILj256ELj11EiiEEvT2_PKT1_PS1_Pij: ; @_ZN9rocsparseL35csrgemm_symbolic_group_reduce_part2ILj256ELj11EiiEEvT2_PKT1_PS1_Pij
; %bb.0:
	s_clause 0x1
	s_load_dword s1, s[4:5], 0x0
	s_load_dwordx2 s[2:3], s[4:5], 0x10
	v_mul_u32_u24_e32 v4, 44, v0
	v_mov_b32_e32 v5, 0
	v_lshl_or_b32 v1, s6, 8, v0
	s_mov_b32 s7, 0
	s_mov_b32 s10, exec_lo
	ds_write2_b32 v4, v5, v5 offset1:1
	ds_write2_b32 v4, v5, v5 offset0:2 offset1:3
	ds_write2_b32 v4, v5, v5 offset0:4 offset1:5
	;; [unrolled: 1-line block ×4, first 2 shown]
	ds_write_b32 v4, v5 offset:40
	s_waitcnt lgkmcnt(0)
	buffer_gl0_inv
	v_cmpx_gt_i32_e64 s1, v1
	s_cbranch_execz .LBB2_43
; %bb.1:
	s_clause 0x3
	s_load_dword s0, s[4:5], 0x20
	s_load_dwordx2 s[8:9], s[4:5], 0x8
	s_load_dword s11, s[4:5], 0x28
	s_load_dwordx2 s[4:5], s[4:5], 0x18
	v_mov_b32_e32 v6, 6
	v_mov_b32_e32 v7, 7
	;; [unrolled: 1-line block ×10, first 2 shown]
	s_waitcnt lgkmcnt(0)
	s_cmpk_lt_u32 s0, 0x4084
	s_cselect_b32 s12, -1, 0
	s_cmpk_lt_u32 s0, 0x8084
	s_cselect_b32 s13, -1, 0
	s_cmp_lt_u32 s0, 0x10084
	s_cselect_b32 s14, -1, 0
	s_cmp_lt_u32 s0, 0x20084
	s_cselect_b32 s0, -1, 0
	s_lshl_b32 s11, s11, 8
	s_xor_b32 s12, s12, -1
	s_xor_b32 s13, s13, -1
	;; [unrolled: 1-line block ×4, first 2 shown]
	s_branch .LBB2_3
.LBB2_2:                                ;   in Loop: Header=BB2_3 Depth=1
	s_or_b32 exec_lo, exec_lo, s0
	v_add_nc_u32_e32 v1, s11, v1
	v_cmp_le_i32_e32 vcc_lo, s1, v1
	s_or_b32 s7, vcc_lo, s7
	s_andn2_b32 exec_lo, exec_lo, s7
	s_cbranch_execz .LBB2_43
.LBB2_3:                                ; =>This Inner Loop Header: Depth=1
	v_ashrrev_i32_e32 v2, 31, v1
	s_mov_b32 s0, exec_lo
	v_lshlrev_b64 v[2:3], 2, v[1:2]
	v_add_co_u32 v16, vcc_lo, s8, v2
	v_add_co_ci_u32_e64 v17, null, s9, v3, vcc_lo
	global_load_dwordx2 v[16:17], v[16:17], off
	s_waitcnt vmcnt(0)
	v_sub_nc_u32_e32 v16, v17, v16
	v_cmpx_lt_i32_e32 16, v16
	s_xor_b32 s16, exec_lo, s0
	s_cbranch_execz .LBB2_41
; %bb.4:                                ;   in Loop: Header=BB2_3 Depth=1
	s_mov_b32 s0, exec_lo
	v_cmpx_lt_u32_e32 32, v16
	s_xor_b32 s17, exec_lo, s0
	s_cbranch_execz .LBB2_38
; %bb.5:                                ;   in Loop: Header=BB2_3 Depth=1
	s_mov_b32 s0, exec_lo
	v_cmpx_lt_u32_e32 0x100, v16
	;; [unrolled: 5-line block ×5, first 2 shown]
	s_xor_b32 s21, exec_lo, s0
	s_cbranch_execz .LBB2_26
; %bb.9:                                ;   in Loop: Header=BB2_3 Depth=1
	v_cmp_gt_u32_e32 vcc_lo, 0x1001, v16
	s_and_b32 s0, s12, vcc_lo
	s_and_saveexec_b32 s22, s0
	s_xor_b32 s0, exec_lo, s22
	s_cbranch_execz .LBB2_11
; %bb.10:                               ;   in Loop: Header=BB2_3 Depth=1
	ds_read_b32 v16, v4 offset:24
	v_add_co_u32 v2, vcc_lo, s4, v2
	v_add_co_ci_u32_e64 v3, null, s5, v3, vcc_lo
	global_store_dword v[2:3], v6, off
                                        ; implicit-def: $vgpr2_vgpr3
	s_waitcnt lgkmcnt(0)
	v_add_nc_u32_e32 v16, 1, v16
	ds_write_b32 v4, v16 offset:24
                                        ; implicit-def: $vgpr16
.LBB2_11:                               ;   in Loop: Header=BB2_3 Depth=1
	s_andn2_saveexec_b32 s22, s0
	s_cbranch_execz .LBB2_25
; %bb.12:                               ;   in Loop: Header=BB2_3 Depth=1
	v_cmp_gt_u32_e32 vcc_lo, 0x2001, v16
	s_and_b32 s0, s13, vcc_lo
	s_and_saveexec_b32 s23, s0
	s_xor_b32 s0, exec_lo, s23
	s_cbranch_execz .LBB2_14
; %bb.13:                               ;   in Loop: Header=BB2_3 Depth=1
	ds_read_b32 v16, v4 offset:28
	v_add_co_u32 v2, vcc_lo, s4, v2
	v_add_co_ci_u32_e64 v3, null, s5, v3, vcc_lo
	global_store_dword v[2:3], v7, off
                                        ; implicit-def: $vgpr2_vgpr3
	s_waitcnt lgkmcnt(0)
	v_add_nc_u32_e32 v16, 1, v16
	ds_write_b32 v4, v16 offset:28
                                        ; implicit-def: $vgpr16
.LBB2_14:                               ;   in Loop: Header=BB2_3 Depth=1
	s_andn2_saveexec_b32 s23, s0
	s_cbranch_execz .LBB2_24
; %bb.15:                               ;   in Loop: Header=BB2_3 Depth=1
	;; [unrolled: 19-line block ×3, first 2 shown]
	v_cmp_gt_u32_e32 vcc_lo, 0x8001, v16
	v_add_co_u32 v2, s0, s4, v2
	v_add_co_ci_u32_e64 v3, null, s5, v3, s0
	s_and_b32 s0, s15, vcc_lo
	s_and_saveexec_b32 s25, s0
	s_xor_b32 s0, exec_lo, s25
	s_cbranch_execz .LBB2_20
; %bb.19:                               ;   in Loop: Header=BB2_3 Depth=1
	ds_read_b32 v16, v4 offset:36
	global_store_dword v[2:3], v9, off
                                        ; implicit-def: $vgpr2_vgpr3
	s_waitcnt lgkmcnt(0)
	v_add_nc_u32_e32 v16, 1, v16
	ds_write_b32 v4, v16 offset:36
.LBB2_20:                               ;   in Loop: Header=BB2_3 Depth=1
	s_andn2_saveexec_b32 s0, s0
	s_cbranch_execz .LBB2_22
; %bb.21:                               ;   in Loop: Header=BB2_3 Depth=1
	ds_read_b32 v16, v4 offset:40
	global_store_dword v[2:3], v10, off
	s_waitcnt lgkmcnt(0)
	v_add_nc_u32_e32 v16, 1, v16
	ds_write_b32 v4, v16 offset:40
.LBB2_22:                               ;   in Loop: Header=BB2_3 Depth=1
	s_or_b32 exec_lo, exec_lo, s0
.LBB2_23:                               ;   in Loop: Header=BB2_3 Depth=1
	s_or_b32 exec_lo, exec_lo, s24
.LBB2_24:                               ;   in Loop: Header=BB2_3 Depth=1
	s_or_b32 exec_lo, exec_lo, s23
.LBB2_25:                               ;   in Loop: Header=BB2_3 Depth=1
	s_or_b32 exec_lo, exec_lo, s22
                                        ; implicit-def: $vgpr2_vgpr3
.LBB2_26:                               ;   in Loop: Header=BB2_3 Depth=1
	s_andn2_saveexec_b32 s0, s21
	s_cbranch_execz .LBB2_28
; %bb.27:                               ;   in Loop: Header=BB2_3 Depth=1
	ds_read_b32 v16, v4 offset:20
	v_add_co_u32 v2, vcc_lo, s4, v2
	v_add_co_ci_u32_e64 v3, null, s5, v3, vcc_lo
	global_store_dword v[2:3], v11, off
	s_waitcnt lgkmcnt(0)
	v_add_nc_u32_e32 v16, 1, v16
	ds_write_b32 v4, v16 offset:20
.LBB2_28:                               ;   in Loop: Header=BB2_3 Depth=1
	s_or_b32 exec_lo, exec_lo, s0
                                        ; implicit-def: $vgpr2_vgpr3
.LBB2_29:                               ;   in Loop: Header=BB2_3 Depth=1
	s_andn2_saveexec_b32 s0, s20
	s_cbranch_execz .LBB2_31
; %bb.30:                               ;   in Loop: Header=BB2_3 Depth=1
	ds_read_b32 v16, v4 offset:16
	v_add_co_u32 v2, vcc_lo, s4, v2
	v_add_co_ci_u32_e64 v3, null, s5, v3, vcc_lo
	global_store_dword v[2:3], v12, off
	s_waitcnt lgkmcnt(0)
	v_add_nc_u32_e32 v16, 1, v16
	ds_write_b32 v4, v16 offset:16
.LBB2_31:                               ;   in Loop: Header=BB2_3 Depth=1
	s_or_b32 exec_lo, exec_lo, s0
                                        ; implicit-def: $vgpr2_vgpr3
.LBB2_32:                               ;   in Loop: Header=BB2_3 Depth=1
	s_andn2_saveexec_b32 s0, s19
	s_cbranch_execz .LBB2_34
; %bb.33:                               ;   in Loop: Header=BB2_3 Depth=1
	ds_read_b32 v16, v4 offset:12
	v_add_co_u32 v2, vcc_lo, s4, v2
	v_add_co_ci_u32_e64 v3, null, s5, v3, vcc_lo
	global_store_dword v[2:3], v13, off
	s_waitcnt lgkmcnt(0)
	v_add_nc_u32_e32 v16, 1, v16
	ds_write_b32 v4, v16 offset:12
.LBB2_34:                               ;   in Loop: Header=BB2_3 Depth=1
	s_or_b32 exec_lo, exec_lo, s0
                                        ; implicit-def: $vgpr2_vgpr3
.LBB2_35:                               ;   in Loop: Header=BB2_3 Depth=1
	s_andn2_saveexec_b32 s0, s18
	s_cbranch_execz .LBB2_37
; %bb.36:                               ;   in Loop: Header=BB2_3 Depth=1
	ds_read_b32 v16, v4 offset:8
	v_add_co_u32 v2, vcc_lo, s4, v2
	v_add_co_ci_u32_e64 v3, null, s5, v3, vcc_lo
	global_store_dword v[2:3], v14, off
	s_waitcnt lgkmcnt(0)
	v_add_nc_u32_e32 v16, 1, v16
	ds_write_b32 v4, v16 offset:8
.LBB2_37:                               ;   in Loop: Header=BB2_3 Depth=1
	s_or_b32 exec_lo, exec_lo, s0
                                        ; implicit-def: $vgpr2_vgpr3
.LBB2_38:                               ;   in Loop: Header=BB2_3 Depth=1
	s_andn2_saveexec_b32 s0, s17
	s_cbranch_execz .LBB2_40
; %bb.39:                               ;   in Loop: Header=BB2_3 Depth=1
	ds_read_b32 v16, v4 offset:4
	v_add_co_u32 v2, vcc_lo, s4, v2
	v_add_co_ci_u32_e64 v3, null, s5, v3, vcc_lo
	global_store_dword v[2:3], v15, off
	s_waitcnt lgkmcnt(0)
	v_add_nc_u32_e32 v16, 1, v16
	ds_write_b32 v4, v16 offset:4
.LBB2_40:                               ;   in Loop: Header=BB2_3 Depth=1
	s_or_b32 exec_lo, exec_lo, s0
                                        ; implicit-def: $vgpr2_vgpr3
.LBB2_41:                               ;   in Loop: Header=BB2_3 Depth=1
	s_andn2_saveexec_b32 s0, s16
	s_cbranch_execz .LBB2_2
; %bb.42:                               ;   in Loop: Header=BB2_3 Depth=1
	ds_read_b32 v16, v4
	v_add_co_u32 v2, vcc_lo, s4, v2
	v_add_co_ci_u32_e64 v3, null, s5, v3, vcc_lo
	global_store_dword v[2:3], v5, off
	s_waitcnt lgkmcnt(0)
	v_add_nc_u32_e32 v16, 1, v16
	ds_write_b32 v4, v16
	s_branch .LBB2_2
.LBB2_43:
	s_or_b32 exec_lo, exec_lo, s10
	s_mov_b32 s0, exec_lo
	s_waitcnt lgkmcnt(0)
	s_waitcnt_vscnt null, 0x0
	s_barrier
	buffer_gl0_inv
	s_barrier
	buffer_gl0_inv
	;; [unrolled: 2-line block ×3, first 2 shown]
	v_cmpx_gt_u32_e32 0x80, v0
	s_cbranch_execz .LBB2_45
; %bb.44:
	v_add_nc_u32_e32 v3, 0x1600, v4
	v_add_nc_u32_e32 v7, 0x1608, v4
	;; [unrolled: 1-line block ×4, first 2 shown]
	ds_read2_b32 v[1:2], v4 offset1:1
	ds_read2_b32 v[5:6], v3 offset1:1
	;; [unrolled: 1-line block ×4, first 2 shown]
	v_add_nc_u32_e32 v3, 0x1618, v4
	ds_read2_b32 v[11:12], v4 offset0:2 offset1:3
	ds_read2_b32 v[13:14], v4 offset0:4 offset1:5
	;; [unrolled: 1-line block ×3, first 2 shown]
	v_add_nc_u32_e32 v23, 40, v4
	ds_read2_b32 v[17:18], v3 offset1:1
	ds_read2_b32 v[19:20], v19 offset1:1
	ds_read2_b32 v[21:22], v4 offset0:8 offset1:9
	ds_read2st64_b32 v[23:24], v23 offset1:22
	s_waitcnt lgkmcnt(9)
	v_add_nc_u32_e32 v1, v1, v5
	v_add_nc_u32_e32 v2, v2, v6
	s_waitcnt lgkmcnt(6)
	v_add_nc_u32_e32 v3, v11, v7
	v_add_nc_u32_e32 v5, v12, v8
	;; [unrolled: 3-line block ×5, first 2 shown]
	s_waitcnt lgkmcnt(0)
	v_add_nc_u32_e32 v12, v23, v24
	ds_write2_b32 v4, v1, v2 offset1:1
	ds_write2_b32 v4, v3, v5 offset0:2 offset1:3
	ds_write2_b32 v4, v6, v7 offset0:4 offset1:5
	;; [unrolled: 1-line block ×4, first 2 shown]
	ds_write_b32 v4, v12 offset:40
.LBB2_45:
	s_or_b32 exec_lo, exec_lo, s0
	s_mov_b32 s0, exec_lo
	s_waitcnt lgkmcnt(0)
	s_barrier
	buffer_gl0_inv
	v_cmpx_gt_u32_e32 64, v0
	s_cbranch_execz .LBB2_47
; %bb.46:
	v_add_nc_u32_e32 v3, 0xb00, v4
	v_add_nc_u32_e32 v7, 0xb08, v4
	;; [unrolled: 1-line block ×4, first 2 shown]
	ds_read2_b32 v[1:2], v4 offset1:1
	ds_read2_b32 v[5:6], v3 offset1:1
	;; [unrolled: 1-line block ×4, first 2 shown]
	v_add_nc_u32_e32 v3, 0xb18, v4
	ds_read2_b32 v[11:12], v4 offset0:2 offset1:3
	ds_read2_b32 v[13:14], v4 offset0:4 offset1:5
	;; [unrolled: 1-line block ×3, first 2 shown]
	v_add_nc_u32_e32 v23, 40, v4
	ds_read2_b32 v[17:18], v3 offset1:1
	ds_read2_b32 v[19:20], v19 offset1:1
	ds_read2_b32 v[21:22], v4 offset0:8 offset1:9
	ds_read2st64_b32 v[23:24], v23 offset1:11
	s_waitcnt lgkmcnt(9)
	v_add_nc_u32_e32 v1, v1, v5
	v_add_nc_u32_e32 v2, v2, v6
	s_waitcnt lgkmcnt(6)
	v_add_nc_u32_e32 v3, v11, v7
	v_add_nc_u32_e32 v5, v12, v8
	;; [unrolled: 3-line block ×5, first 2 shown]
	s_waitcnt lgkmcnt(0)
	v_add_nc_u32_e32 v12, v23, v24
	ds_write2_b32 v4, v1, v2 offset1:1
	ds_write2_b32 v4, v3, v5 offset0:2 offset1:3
	ds_write2_b32 v4, v6, v7 offset0:4 offset1:5
	;; [unrolled: 1-line block ×4, first 2 shown]
	ds_write_b32 v4, v12 offset:40
.LBB2_47:
	s_or_b32 exec_lo, exec_lo, s0
	s_mov_b32 s0, exec_lo
	s_waitcnt lgkmcnt(0)
	s_barrier
	buffer_gl0_inv
	v_cmpx_gt_u32_e32 32, v0
	s_cbranch_execz .LBB2_49
; %bb.48:
	v_add_nc_u32_e32 v3, 0x580, v4
	v_add_nc_u32_e32 v9, 0x588, v4
	ds_read2_b32 v[1:2], v4 offset1:1
	ds_read2_b32 v[5:6], v4 offset0:2 offset1:3
	v_add_nc_u32_e32 v11, 0x590, v4
	v_add_nc_u32_e32 v19, 0x5a0, v4
	ds_read2_b32 v[7:8], v3 offset1:1
	v_add_nc_u32_e32 v3, 0x598, v4
	ds_read2_b32 v[9:10], v9 offset1:1
	ds_read2_b32 v[11:12], v11 offset1:1
	ds_read2_b32 v[13:14], v4 offset0:4 offset1:5
	ds_read2_b32 v[15:16], v4 offset0:6 offset1:7
	ds_read2_b32 v[17:18], v3 offset1:1
	ds_read2_b32 v[19:20], v19 offset1:1
	ds_read2_b32 v[21:22], v4 offset0:8 offset1:9
	ds_read_b32 v3, v4 offset:1448
	ds_read_b32 v23, v4 offset:40
	s_waitcnt lgkmcnt(8)
	v_add_nc_u32_e32 v5, v5, v9
	v_add_nc_u32_e32 v6, v6, v10
	s_waitcnt lgkmcnt(4)
	v_add_nc_u32_e32 v9, v15, v17
	v_add_nc_u32_e32 v1, v1, v7
	;; [unrolled: 1-line block ×6, first 2 shown]
	s_waitcnt lgkmcnt(2)
	v_add_nc_u32_e32 v11, v21, v19
	v_add_nc_u32_e32 v12, v22, v20
	s_waitcnt lgkmcnt(0)
	v_add_nc_u32_e32 v3, v23, v3
	ds_write2_b32 v4, v1, v2 offset1:1
	ds_write2_b32 v4, v5, v6 offset0:2 offset1:3
	ds_write2_b32 v4, v7, v8 offset0:4 offset1:5
	;; [unrolled: 1-line block ×4, first 2 shown]
	ds_write_b32 v4, v3 offset:40
.LBB2_49:
	s_or_b32 exec_lo, exec_lo, s0
	s_mov_b32 s0, exec_lo
	s_waitcnt lgkmcnt(0)
	s_barrier
	buffer_gl0_inv
	v_cmpx_gt_u32_e32 16, v0
	s_cbranch_execz .LBB2_51
; %bb.50:
	ds_read2_b32 v[1:2], v4 offset0:176 offset1:177
	ds_read2_b32 v[5:6], v4 offset1:1
	ds_read2_b32 v[7:8], v4 offset0:2 offset1:3
	ds_read2_b32 v[9:10], v4 offset0:178 offset1:179
	ds_read2_b32 v[11:12], v4 offset0:180 offset1:181
	ds_read2_b32 v[13:14], v4 offset0:4 offset1:5
	ds_read2_b32 v[15:16], v4 offset0:6 offset1:7
	ds_read2_b32 v[17:18], v4 offset0:182 offset1:183
	ds_read2_b32 v[19:20], v4 offset0:184 offset1:185
	ds_read2_b32 v[21:22], v4 offset0:8 offset1:9
	ds_read2_b32 v[23:24], v4 offset0:10 offset1:186
	s_waitcnt lgkmcnt(9)
	v_add_nc_u32_e32 v1, v5, v1
	v_add_nc_u32_e32 v2, v6, v2
	s_waitcnt lgkmcnt(7)
	v_add_nc_u32_e32 v3, v7, v9
	v_add_nc_u32_e32 v5, v8, v10
	s_waitcnt lgkmcnt(5)
	v_add_nc_u32_e32 v6, v13, v11
	v_add_nc_u32_e32 v7, v14, v12
	s_waitcnt lgkmcnt(3)
	v_add_nc_u32_e32 v8, v15, v17
	v_add_nc_u32_e32 v9, v16, v18
	s_waitcnt lgkmcnt(1)
	v_add_nc_u32_e32 v10, v21, v19
	v_add_nc_u32_e32 v11, v22, v20
	s_waitcnt lgkmcnt(0)
	v_add_nc_u32_e32 v12, v23, v24
	ds_write2_b32 v4, v1, v2 offset1:1
	ds_write2_b32 v4, v3, v5 offset0:2 offset1:3
	ds_write2_b32 v4, v6, v7 offset0:4 offset1:5
	ds_write2_b32 v4, v8, v9 offset0:6 offset1:7
	ds_write2_b32 v4, v10, v11 offset0:8 offset1:9
	ds_write_b32 v4, v12 offset:40
.LBB2_51:
	s_or_b32 exec_lo, exec_lo, s0
	s_mov_b32 s0, exec_lo
	s_waitcnt lgkmcnt(0)
	s_barrier
	buffer_gl0_inv
	v_cmpx_gt_u32_e32 8, v0
	s_cbranch_execz .LBB2_53
; %bb.52:
	ds_read2_b32 v[1:2], v4 offset0:88 offset1:89
	ds_read2_b32 v[5:6], v4 offset1:1
	ds_read2_b32 v[7:8], v4 offset0:2 offset1:3
	ds_read2_b32 v[9:10], v4 offset0:90 offset1:91
	ds_read2_b32 v[11:12], v4 offset0:92 offset1:93
	ds_read2_b32 v[13:14], v4 offset0:4 offset1:5
	ds_read2_b32 v[15:16], v4 offset0:6 offset1:7
	ds_read2_b32 v[17:18], v4 offset0:94 offset1:95
	ds_read2_b32 v[19:20], v4 offset0:96 offset1:97
	ds_read2_b32 v[21:22], v4 offset0:8 offset1:9
	ds_read2_b32 v[23:24], v4 offset0:10 offset1:98
	s_waitcnt lgkmcnt(9)
	v_add_nc_u32_e32 v1, v5, v1
	v_add_nc_u32_e32 v2, v6, v2
	s_waitcnt lgkmcnt(7)
	v_add_nc_u32_e32 v3, v7, v9
	v_add_nc_u32_e32 v5, v8, v10
	s_waitcnt lgkmcnt(5)
	v_add_nc_u32_e32 v6, v13, v11
	v_add_nc_u32_e32 v7, v14, v12
	s_waitcnt lgkmcnt(3)
	v_add_nc_u32_e32 v8, v15, v17
	v_add_nc_u32_e32 v9, v16, v18
	s_waitcnt lgkmcnt(1)
	v_add_nc_u32_e32 v10, v21, v19
	v_add_nc_u32_e32 v11, v22, v20
	s_waitcnt lgkmcnt(0)
	v_add_nc_u32_e32 v12, v23, v24
	ds_write2_b32 v4, v1, v2 offset1:1
	ds_write2_b32 v4, v3, v5 offset0:2 offset1:3
	ds_write2_b32 v4, v6, v7 offset0:4 offset1:5
	ds_write2_b32 v4, v8, v9 offset0:6 offset1:7
	ds_write2_b32 v4, v10, v11 offset0:8 offset1:9
	ds_write_b32 v4, v12 offset:40
.LBB2_53:
	;; [unrolled: 43-line block ×4, first 2 shown]
	s_or_b32 exec_lo, exec_lo, s0
	s_mov_b32 s0, exec_lo
	s_waitcnt lgkmcnt(0)
	s_barrier
	buffer_gl0_inv
	v_cmpx_eq_u32_e32 0, v0
	s_cbranch_execz .LBB2_59
; %bb.58:
	v_mov_b32_e32 v23, 0
	ds_read_b128 v[1:4], v23
	ds_read_b128 v[5:8], v23 offset:32
	ds_read_b128 v[9:12], v23 offset:48
	;; [unrolled: 1-line block ×4, first 2 shown]
	ds_read_b64 v[21:22], v23 offset:80
	s_waitcnt lgkmcnt(4)
	v_add_nc_u32_e32 v1, v1, v8
	s_waitcnt lgkmcnt(3)
	v_add_nc_u32_e32 v2, v2, v9
	v_add_nc_u32_e32 v3, v3, v10
	;; [unrolled: 1-line block ×3, first 2 shown]
	s_waitcnt lgkmcnt(2)
	v_add_nc_u32_e32 v8, v13, v12
	s_waitcnt lgkmcnt(1)
	v_add_nc_u32_e32 v9, v14, v17
	v_add_nc_u32_e32 v10, v15, v18
	;; [unrolled: 1-line block ×4, first 2 shown]
	s_waitcnt lgkmcnt(0)
	v_add_nc_u32_e32 v6, v6, v21
	v_add_nc_u32_e32 v7, v7, v22
	ds_write_b128 v23, v[1:4]
	ds_write_b128 v23, v[8:11] offset:16
	ds_write_b96 v23, v[5:7] offset:32
.LBB2_59:
	s_or_b32 exec_lo, exec_lo, s0
	s_waitcnt lgkmcnt(0)
	s_barrier
	buffer_gl0_inv
	s_mov_b32 s0, exec_lo
	v_cmpx_gt_u32_e32 11, v0
	s_cbranch_execz .LBB2_61
; %bb.60:
	v_lshlrev_b32_e32 v2, 2, v0
	v_mad_u64_u32 v[0:1], null, s6, 11, v[0:1]
	v_mov_b32_e32 v1, 0
	ds_read_b32 v2, v2
	v_lshlrev_b64 v[0:1], 2, v[0:1]
	v_add_co_u32 v0, vcc_lo, s2, v0
	v_add_co_ci_u32_e64 v1, null, s3, v1, vcc_lo
	s_waitcnt lgkmcnt(0)
	global_store_dword v[0:1], v2, off
.LBB2_61:
	s_endpgm
	.section	.rodata,"a",@progbits
	.p2align	6, 0x0
	.amdhsa_kernel _ZN9rocsparseL35csrgemm_symbolic_group_reduce_part2ILj256ELj11EiiEEvT2_PKT1_PS1_Pij
		.amdhsa_group_segment_fixed_size 11264
		.amdhsa_private_segment_fixed_size 0
		.amdhsa_kernarg_size 296
		.amdhsa_user_sgpr_count 6
		.amdhsa_user_sgpr_private_segment_buffer 1
		.amdhsa_user_sgpr_dispatch_ptr 0
		.amdhsa_user_sgpr_queue_ptr 0
		.amdhsa_user_sgpr_kernarg_segment_ptr 1
		.amdhsa_user_sgpr_dispatch_id 0
		.amdhsa_user_sgpr_flat_scratch_init 0
		.amdhsa_user_sgpr_private_segment_size 0
		.amdhsa_wavefront_size32 1
		.amdhsa_uses_dynamic_stack 0
		.amdhsa_system_sgpr_private_segment_wavefront_offset 0
		.amdhsa_system_sgpr_workgroup_id_x 1
		.amdhsa_system_sgpr_workgroup_id_y 0
		.amdhsa_system_sgpr_workgroup_id_z 0
		.amdhsa_system_sgpr_workgroup_info 0
		.amdhsa_system_vgpr_workitem_id 0
		.amdhsa_next_free_vgpr 25
		.amdhsa_next_free_sgpr 26
		.amdhsa_reserve_vcc 1
		.amdhsa_reserve_flat_scratch 0
		.amdhsa_float_round_mode_32 0
		.amdhsa_float_round_mode_16_64 0
		.amdhsa_float_denorm_mode_32 3
		.amdhsa_float_denorm_mode_16_64 3
		.amdhsa_dx10_clamp 1
		.amdhsa_ieee_mode 1
		.amdhsa_fp16_overflow 0
		.amdhsa_workgroup_processor_mode 1
		.amdhsa_memory_ordered 1
		.amdhsa_forward_progress 1
		.amdhsa_shared_vgpr_count 0
		.amdhsa_exception_fp_ieee_invalid_op 0
		.amdhsa_exception_fp_denorm_src 0
		.amdhsa_exception_fp_ieee_div_zero 0
		.amdhsa_exception_fp_ieee_overflow 0
		.amdhsa_exception_fp_ieee_underflow 0
		.amdhsa_exception_fp_ieee_inexact 0
		.amdhsa_exception_int_div_zero 0
	.end_amdhsa_kernel
	.section	.text._ZN9rocsparseL35csrgemm_symbolic_group_reduce_part2ILj256ELj11EiiEEvT2_PKT1_PS1_Pij,"axG",@progbits,_ZN9rocsparseL35csrgemm_symbolic_group_reduce_part2ILj256ELj11EiiEEvT2_PKT1_PS1_Pij,comdat
.Lfunc_end2:
	.size	_ZN9rocsparseL35csrgemm_symbolic_group_reduce_part2ILj256ELj11EiiEEvT2_PKT1_PS1_Pij, .Lfunc_end2-_ZN9rocsparseL35csrgemm_symbolic_group_reduce_part2ILj256ELj11EiiEEvT2_PKT1_PS1_Pij
                                        ; -- End function
	.set _ZN9rocsparseL35csrgemm_symbolic_group_reduce_part2ILj256ELj11EiiEEvT2_PKT1_PS1_Pij.num_vgpr, 25
	.set _ZN9rocsparseL35csrgemm_symbolic_group_reduce_part2ILj256ELj11EiiEEvT2_PKT1_PS1_Pij.num_agpr, 0
	.set _ZN9rocsparseL35csrgemm_symbolic_group_reduce_part2ILj256ELj11EiiEEvT2_PKT1_PS1_Pij.numbered_sgpr, 26
	.set _ZN9rocsparseL35csrgemm_symbolic_group_reduce_part2ILj256ELj11EiiEEvT2_PKT1_PS1_Pij.num_named_barrier, 0
	.set _ZN9rocsparseL35csrgemm_symbolic_group_reduce_part2ILj256ELj11EiiEEvT2_PKT1_PS1_Pij.private_seg_size, 0
	.set _ZN9rocsparseL35csrgemm_symbolic_group_reduce_part2ILj256ELj11EiiEEvT2_PKT1_PS1_Pij.uses_vcc, 1
	.set _ZN9rocsparseL35csrgemm_symbolic_group_reduce_part2ILj256ELj11EiiEEvT2_PKT1_PS1_Pij.uses_flat_scratch, 0
	.set _ZN9rocsparseL35csrgemm_symbolic_group_reduce_part2ILj256ELj11EiiEEvT2_PKT1_PS1_Pij.has_dyn_sized_stack, 0
	.set _ZN9rocsparseL35csrgemm_symbolic_group_reduce_part2ILj256ELj11EiiEEvT2_PKT1_PS1_Pij.has_recursion, 0
	.set _ZN9rocsparseL35csrgemm_symbolic_group_reduce_part2ILj256ELj11EiiEEvT2_PKT1_PS1_Pij.has_indirect_call, 0
	.section	.AMDGPU.csdata,"",@progbits
; Kernel info:
; codeLenInByte = 3248
; TotalNumSgprs: 28
; NumVgprs: 25
; ScratchSize: 0
; MemoryBound: 0
; FloatMode: 240
; IeeeMode: 1
; LDSByteSize: 11264 bytes/workgroup (compile time only)
; SGPRBlocks: 0
; VGPRBlocks: 3
; NumSGPRsForWavesPerEU: 28
; NumVGPRsForWavesPerEU: 25
; Occupancy: 16
; WaveLimiterHint : 0
; COMPUTE_PGM_RSRC2:SCRATCH_EN: 0
; COMPUTE_PGM_RSRC2:USER_SGPR: 6
; COMPUTE_PGM_RSRC2:TRAP_HANDLER: 0
; COMPUTE_PGM_RSRC2:TGID_X_EN: 1
; COMPUTE_PGM_RSRC2:TGID_Y_EN: 0
; COMPUTE_PGM_RSRC2:TGID_Z_EN: 0
; COMPUTE_PGM_RSRC2:TIDIG_COMP_CNT: 0
	.section	.text._ZN9rocsparseL35csrgemm_symbolic_group_reduce_part3ILj256ELj11EiEEvPT1_,"axG",@progbits,_ZN9rocsparseL35csrgemm_symbolic_group_reduce_part3ILj256ELj11EiEEvPT1_,comdat
	.globl	_ZN9rocsparseL35csrgemm_symbolic_group_reduce_part3ILj256ELj11EiEEvPT1_ ; -- Begin function _ZN9rocsparseL35csrgemm_symbolic_group_reduce_part3ILj256ELj11EiEEvPT1_
	.p2align	8
	.type	_ZN9rocsparseL35csrgemm_symbolic_group_reduce_part3ILj256ELj11EiEEvPT1_,@function
_ZN9rocsparseL35csrgemm_symbolic_group_reduce_part3ILj256ELj11EiEEvPT1_: ; @_ZN9rocsparseL35csrgemm_symbolic_group_reduce_part3ILj256ELj11EiEEvPT1_
; %bb.0:
	s_load_dwordx2 s[2:3], s[4:5], 0x0
	v_lshlrev_b32_e32 v3, 2, v0
	v_or_b32_e32 v4, 0xffffff00, v0
	s_mov_b32 s1, 0
	s_waitcnt lgkmcnt(0)
	v_add_co_u32 v1, s0, s2, v3
	v_add_co_ci_u32_e64 v2, null, s3, 0, s0
	.p2align	6
.LBB3_1:                                ; =>This Inner Loop Header: Depth=1
	global_load_dword v5, v[1:2], off
	v_add_nc_u32_e32 v4, 0x100, v4
	v_add_co_u32 v1, vcc_lo, 0x400, v1
	v_add_co_ci_u32_e64 v2, null, 0, v2, vcc_lo
	v_cmp_lt_u32_e64 s0, 0x9ff, v4
	s_or_b32 s1, s0, s1
	s_waitcnt vmcnt(0)
	ds_write_b32 v3, v5
	v_add_nc_u32_e32 v3, 0x400, v3
	s_andn2_b32 exec_lo, exec_lo, s1
	s_cbranch_execnz .LBB3_1
; %bb.2:
	s_or_b32 exec_lo, exec_lo, s1
	v_mul_u32_u24_e32 v1, 44, v0
	s_mov_b32 s0, exec_lo
	s_waitcnt lgkmcnt(0)
	s_barrier
	buffer_gl0_inv
	s_barrier
	buffer_gl0_inv
	;; [unrolled: 2-line block ×3, first 2 shown]
	v_cmpx_gt_u32_e32 0x80, v0
	s_cbranch_execz .LBB3_4
; %bb.3:
	v_mad_u32_u24 v2, v0, 44, 0x1600
	v_mad_u32_u24 v10, v0, 44, 0x1608
	;; [unrolled: 1-line block ×5, first 2 shown]
	ds_read2_b32 v[2:3], v2 offset1:1
	ds_read2_b32 v[4:5], v1 offset1:1
	ds_read2_b32 v[6:7], v1 offset0:2 offset1:3
	ds_read2_b32 v[8:9], v1 offset0:4 offset1:5
	ds_read2_b32 v[10:11], v10 offset1:1
	ds_read2_b32 v[12:13], v12 offset1:1
	;; [unrolled: 1-line block ×3, first 2 shown]
	v_add_nc_u32_e32 v22, 40, v1
	ds_read2_b32 v[16:17], v1 offset0:6 offset1:7
	ds_read2_b32 v[18:19], v18 offset1:1
	ds_read2_b32 v[20:21], v1 offset0:8 offset1:9
	ds_read2st64_b32 v[22:23], v22 offset1:22
	s_waitcnt lgkmcnt(9)
	v_add_nc_u32_e32 v2, v4, v2
	v_add_nc_u32_e32 v3, v5, v3
	s_waitcnt lgkmcnt(6)
	v_add_nc_u32_e32 v4, v6, v10
	v_add_nc_u32_e32 v5, v7, v11
	;; [unrolled: 3-line block ×5, first 2 shown]
	s_waitcnt lgkmcnt(0)
	v_add_nc_u32_e32 v12, v22, v23
	ds_write2_b32 v1, v2, v3 offset1:1
	ds_write2_b32 v1, v4, v5 offset0:2 offset1:3
	ds_write2_b32 v1, v6, v7 offset0:4 offset1:5
	;; [unrolled: 1-line block ×4, first 2 shown]
	ds_write_b32 v1, v12 offset:40
.LBB3_4:
	s_or_b32 exec_lo, exec_lo, s0
	s_mov_b32 s0, exec_lo
	s_waitcnt lgkmcnt(0)
	s_barrier
	buffer_gl0_inv
	v_cmpx_gt_u32_e32 64, v0
	s_cbranch_execz .LBB3_6
; %bb.5:
	v_mad_u32_u24 v2, v0, 44, 0xb00
	v_mad_u32_u24 v10, v0, 44, 0xb08
	;; [unrolled: 1-line block ×5, first 2 shown]
	ds_read2_b32 v[2:3], v2 offset1:1
	ds_read2_b32 v[4:5], v1 offset1:1
	ds_read2_b32 v[6:7], v1 offset0:2 offset1:3
	ds_read2_b32 v[8:9], v1 offset0:4 offset1:5
	ds_read2_b32 v[10:11], v10 offset1:1
	ds_read2_b32 v[12:13], v12 offset1:1
	;; [unrolled: 1-line block ×3, first 2 shown]
	v_add_nc_u32_e32 v22, 40, v1
	ds_read2_b32 v[16:17], v1 offset0:6 offset1:7
	ds_read2_b32 v[18:19], v18 offset1:1
	ds_read2_b32 v[20:21], v1 offset0:8 offset1:9
	ds_read2st64_b32 v[22:23], v22 offset1:11
	s_waitcnt lgkmcnt(9)
	v_add_nc_u32_e32 v2, v4, v2
	v_add_nc_u32_e32 v3, v5, v3
	s_waitcnt lgkmcnt(6)
	v_add_nc_u32_e32 v4, v6, v10
	v_add_nc_u32_e32 v5, v7, v11
	;; [unrolled: 3-line block ×5, first 2 shown]
	s_waitcnt lgkmcnt(0)
	v_add_nc_u32_e32 v12, v22, v23
	ds_write2_b32 v1, v2, v3 offset1:1
	ds_write2_b32 v1, v4, v5 offset0:2 offset1:3
	ds_write2_b32 v1, v6, v7 offset0:4 offset1:5
	;; [unrolled: 1-line block ×4, first 2 shown]
	ds_write_b32 v1, v12 offset:40
.LBB3_6:
	s_or_b32 exec_lo, exec_lo, s0
	s_mov_b32 s0, exec_lo
	s_waitcnt lgkmcnt(0)
	s_barrier
	buffer_gl0_inv
	v_cmpx_gt_u32_e32 32, v0
	s_cbranch_execz .LBB3_8
; %bb.7:
	v_mad_u32_u24 v2, v0, 44, 0x580
	v_mad_u32_u24 v4, v0, 44, 0x588
	v_mad_u32_u24 v12, v0, 44, 0x590
	v_mad_u32_u24 v14, v0, 44, 0x598
	v_mad_u32_u24 v20, v0, 44, 0x5a0
	ds_read2_b32 v[2:3], v2 offset1:1
	ds_read2_b32 v[4:5], v4 offset1:1
	ds_read_b32 v22, v1 offset:1448
	ds_read_b32 v23, v1 offset:40
	ds_read2_b32 v[6:7], v1 offset1:1
	ds_read2_b32 v[8:9], v1 offset0:2 offset1:3
	ds_read2_b32 v[10:11], v1 offset0:4 offset1:5
	ds_read2_b32 v[12:13], v12 offset1:1
	ds_read2_b32 v[14:15], v14 offset1:1
	ds_read2_b32 v[16:17], v1 offset0:6 offset1:7
	ds_read2_b32 v[18:19], v1 offset0:8 offset1:9
	ds_read2_b32 v[20:21], v20 offset1:1
	s_waitcnt lgkmcnt(8)
	v_add_nc_u32_e32 v22, v23, v22
	s_waitcnt lgkmcnt(7)
	v_add_nc_u32_e32 v2, v6, v2
	v_add_nc_u32_e32 v3, v7, v3
	s_waitcnt lgkmcnt(6)
	v_add_nc_u32_e32 v4, v8, v4
	;; [unrolled: 3-line block ×5, first 2 shown]
	v_add_nc_u32_e32 v11, v19, v21
	ds_write2_b32 v1, v2, v3 offset1:1
	ds_write2_b32 v1, v4, v5 offset0:2 offset1:3
	ds_write2_b32 v1, v6, v7 offset0:4 offset1:5
	;; [unrolled: 1-line block ×4, first 2 shown]
	ds_write_b32 v1, v22 offset:40
.LBB3_8:
	s_or_b32 exec_lo, exec_lo, s0
	s_mov_b32 s0, exec_lo
	s_waitcnt lgkmcnt(0)
	s_barrier
	buffer_gl0_inv
	v_cmpx_gt_u32_e32 16, v0
	s_cbranch_execz .LBB3_10
; %bb.9:
	ds_read2_b32 v[2:3], v1 offset0:176 offset1:177
	ds_read2_b32 v[4:5], v1 offset1:1
	ds_read2_b32 v[6:7], v1 offset0:2 offset1:3
	ds_read2_b32 v[8:9], v1 offset0:178 offset1:179
	ds_read2_b32 v[10:11], v1 offset0:180 offset1:181
	ds_read2_b32 v[12:13], v1 offset0:4 offset1:5
	ds_read2_b32 v[14:15], v1 offset0:6 offset1:7
	ds_read2_b32 v[16:17], v1 offset0:182 offset1:183
	ds_read2_b32 v[18:19], v1 offset0:184 offset1:185
	ds_read2_b32 v[20:21], v1 offset0:8 offset1:9
	ds_read2_b32 v[22:23], v1 offset0:10 offset1:186
	s_waitcnt lgkmcnt(9)
	v_add_nc_u32_e32 v2, v4, v2
	v_add_nc_u32_e32 v3, v5, v3
	s_waitcnt lgkmcnt(7)
	v_add_nc_u32_e32 v4, v6, v8
	v_add_nc_u32_e32 v5, v7, v9
	s_waitcnt lgkmcnt(5)
	v_add_nc_u32_e32 v6, v12, v10
	v_add_nc_u32_e32 v7, v13, v11
	s_waitcnt lgkmcnt(3)
	v_add_nc_u32_e32 v8, v14, v16
	v_add_nc_u32_e32 v9, v15, v17
	s_waitcnt lgkmcnt(1)
	v_add_nc_u32_e32 v10, v20, v18
	v_add_nc_u32_e32 v11, v21, v19
	s_waitcnt lgkmcnt(0)
	v_add_nc_u32_e32 v12, v22, v23
	ds_write2_b32 v1, v2, v3 offset1:1
	ds_write2_b32 v1, v4, v5 offset0:2 offset1:3
	ds_write2_b32 v1, v6, v7 offset0:4 offset1:5
	ds_write2_b32 v1, v8, v9 offset0:6 offset1:7
	ds_write2_b32 v1, v10, v11 offset0:8 offset1:9
	ds_write_b32 v1, v12 offset:40
.LBB3_10:
	s_or_b32 exec_lo, exec_lo, s0
	s_mov_b32 s0, exec_lo
	s_waitcnt lgkmcnt(0)
	s_barrier
	buffer_gl0_inv
	v_cmpx_gt_u32_e32 8, v0
	s_cbranch_execz .LBB3_12
; %bb.11:
	ds_read2_b32 v[2:3], v1 offset0:88 offset1:89
	ds_read2_b32 v[4:5], v1 offset1:1
	ds_read2_b32 v[6:7], v1 offset0:2 offset1:3
	ds_read2_b32 v[8:9], v1 offset0:90 offset1:91
	ds_read2_b32 v[10:11], v1 offset0:92 offset1:93
	ds_read2_b32 v[12:13], v1 offset0:4 offset1:5
	ds_read2_b32 v[14:15], v1 offset0:6 offset1:7
	ds_read2_b32 v[16:17], v1 offset0:94 offset1:95
	ds_read2_b32 v[18:19], v1 offset0:96 offset1:97
	ds_read2_b32 v[20:21], v1 offset0:8 offset1:9
	ds_read2_b32 v[22:23], v1 offset0:10 offset1:98
	s_waitcnt lgkmcnt(9)
	v_add_nc_u32_e32 v2, v4, v2
	v_add_nc_u32_e32 v3, v5, v3
	s_waitcnt lgkmcnt(7)
	v_add_nc_u32_e32 v4, v6, v8
	v_add_nc_u32_e32 v5, v7, v9
	s_waitcnt lgkmcnt(5)
	v_add_nc_u32_e32 v6, v12, v10
	v_add_nc_u32_e32 v7, v13, v11
	s_waitcnt lgkmcnt(3)
	v_add_nc_u32_e32 v8, v14, v16
	v_add_nc_u32_e32 v9, v15, v17
	s_waitcnt lgkmcnt(1)
	v_add_nc_u32_e32 v10, v20, v18
	v_add_nc_u32_e32 v11, v21, v19
	s_waitcnt lgkmcnt(0)
	v_add_nc_u32_e32 v12, v22, v23
	ds_write2_b32 v1, v2, v3 offset1:1
	ds_write2_b32 v1, v4, v5 offset0:2 offset1:3
	ds_write2_b32 v1, v6, v7 offset0:4 offset1:5
	ds_write2_b32 v1, v8, v9 offset0:6 offset1:7
	ds_write2_b32 v1, v10, v11 offset0:8 offset1:9
	ds_write_b32 v1, v12 offset:40
.LBB3_12:
	s_or_b32 exec_lo, exec_lo, s0
	s_mov_b32 s0, exec_lo
	s_waitcnt lgkmcnt(0)
	s_barrier
	buffer_gl0_inv
	v_cmpx_gt_u32_e32 4, v0
	s_cbranch_execz .LBB3_14
; %bb.13:
	ds_read2_b32 v[2:3], v1 offset0:44 offset1:45
	ds_read2_b32 v[4:5], v1 offset1:1
	ds_read2_b32 v[6:7], v1 offset0:2 offset1:3
	ds_read2_b32 v[8:9], v1 offset0:46 offset1:47
	ds_read2_b32 v[10:11], v1 offset0:48 offset1:49
	ds_read2_b32 v[12:13], v1 offset0:4 offset1:5
	ds_read2_b32 v[14:15], v1 offset0:6 offset1:7
	ds_read2_b32 v[16:17], v1 offset0:50 offset1:51
	ds_read2_b32 v[18:19], v1 offset0:52 offset1:53
	ds_read2_b32 v[20:21], v1 offset0:8 offset1:9
	ds_read2_b32 v[22:23], v1 offset0:10 offset1:54
	s_waitcnt lgkmcnt(9)
	v_add_nc_u32_e32 v2, v4, v2
	v_add_nc_u32_e32 v3, v5, v3
	s_waitcnt lgkmcnt(7)
	v_add_nc_u32_e32 v4, v6, v8
	v_add_nc_u32_e32 v5, v7, v9
	s_waitcnt lgkmcnt(5)
	v_add_nc_u32_e32 v6, v12, v10
	v_add_nc_u32_e32 v7, v13, v11
	s_waitcnt lgkmcnt(3)
	v_add_nc_u32_e32 v8, v14, v16
	v_add_nc_u32_e32 v9, v15, v17
	s_waitcnt lgkmcnt(1)
	v_add_nc_u32_e32 v10, v20, v18
	v_add_nc_u32_e32 v11, v21, v19
	s_waitcnt lgkmcnt(0)
	v_add_nc_u32_e32 v12, v22, v23
	ds_write2_b32 v1, v2, v3 offset1:1
	ds_write2_b32 v1, v4, v5 offset0:2 offset1:3
	ds_write2_b32 v1, v6, v7 offset0:4 offset1:5
	ds_write2_b32 v1, v8, v9 offset0:6 offset1:7
	ds_write2_b32 v1, v10, v11 offset0:8 offset1:9
	ds_write_b32 v1, v12 offset:40
.LBB3_14:
	s_or_b32 exec_lo, exec_lo, s0
	s_mov_b32 s0, exec_lo
	s_waitcnt lgkmcnt(0)
	s_barrier
	buffer_gl0_inv
	v_cmpx_gt_u32_e32 2, v0
	s_cbranch_execz .LBB3_16
; %bb.15:
	ds_read2_b32 v[2:3], v1 offset0:22 offset1:23
	ds_read2_b32 v[4:5], v1 offset1:1
	ds_read2_b32 v[6:7], v1 offset0:2 offset1:3
	ds_read2_b32 v[8:9], v1 offset0:24 offset1:25
	ds_read2_b32 v[10:11], v1 offset0:26 offset1:27
	ds_read2_b32 v[12:13], v1 offset0:4 offset1:5
	ds_read2_b32 v[14:15], v1 offset0:6 offset1:7
	ds_read2_b32 v[16:17], v1 offset0:28 offset1:29
	ds_read2_b32 v[18:19], v1 offset0:30 offset1:31
	ds_read2_b32 v[20:21], v1 offset0:8 offset1:9
	ds_read2_b32 v[22:23], v1 offset0:10 offset1:32
	s_waitcnt lgkmcnt(9)
	v_add_nc_u32_e32 v2, v4, v2
	v_add_nc_u32_e32 v3, v5, v3
	s_waitcnt lgkmcnt(7)
	v_add_nc_u32_e32 v4, v6, v8
	v_add_nc_u32_e32 v5, v7, v9
	s_waitcnt lgkmcnt(5)
	v_add_nc_u32_e32 v6, v12, v10
	v_add_nc_u32_e32 v7, v13, v11
	s_waitcnt lgkmcnt(3)
	v_add_nc_u32_e32 v8, v14, v16
	v_add_nc_u32_e32 v9, v15, v17
	s_waitcnt lgkmcnt(1)
	v_add_nc_u32_e32 v10, v20, v18
	v_add_nc_u32_e32 v11, v21, v19
	s_waitcnt lgkmcnt(0)
	v_add_nc_u32_e32 v12, v22, v23
	ds_write2_b32 v1, v2, v3 offset1:1
	ds_write2_b32 v1, v4, v5 offset0:2 offset1:3
	ds_write2_b32 v1, v6, v7 offset0:4 offset1:5
	ds_write2_b32 v1, v8, v9 offset0:6 offset1:7
	ds_write2_b32 v1, v10, v11 offset0:8 offset1:9
	ds_write_b32 v1, v12 offset:40
.LBB3_16:
	s_or_b32 exec_lo, exec_lo, s0
	s_mov_b32 s0, exec_lo
	s_waitcnt lgkmcnt(0)
	s_barrier
	buffer_gl0_inv
	v_cmpx_eq_u32_e32 0, v0
	s_cbranch_execz .LBB3_18
; %bb.17:
	v_mov_b32_e32 v23, 0
	ds_read_b128 v[1:4], v23
	ds_read_b128 v[5:8], v23 offset:32
	ds_read_b128 v[9:12], v23 offset:48
	ds_read_b128 v[13:16], v23 offset:16
	ds_read_b128 v[17:20], v23 offset:64
	ds_read_b64 v[21:22], v23 offset:80
	s_waitcnt lgkmcnt(4)
	v_add_nc_u32_e32 v1, v1, v8
	s_waitcnt lgkmcnt(3)
	v_add_nc_u32_e32 v2, v2, v9
	v_add_nc_u32_e32 v3, v3, v10
	;; [unrolled: 1-line block ×3, first 2 shown]
	s_waitcnt lgkmcnt(2)
	v_add_nc_u32_e32 v8, v13, v12
	s_waitcnt lgkmcnt(1)
	v_add_nc_u32_e32 v9, v14, v17
	v_add_nc_u32_e32 v10, v15, v18
	;; [unrolled: 1-line block ×4, first 2 shown]
	s_waitcnt lgkmcnt(0)
	v_add_nc_u32_e32 v6, v6, v21
	v_add_nc_u32_e32 v7, v7, v22
	ds_write_b128 v23, v[1:4]
	ds_write_b128 v23, v[8:11] offset:16
	ds_write_b96 v23, v[5:7] offset:32
.LBB3_18:
	s_or_b32 exec_lo, exec_lo, s0
	s_waitcnt lgkmcnt(0)
	s_barrier
	buffer_gl0_inv
	s_mov_b32 s0, exec_lo
	v_cmpx_gt_u32_e32 11, v0
	s_cbranch_execz .LBB3_20
; %bb.19:
	v_lshlrev_b32_e32 v0, 2, v0
	ds_read_b32 v1, v0
	s_waitcnt lgkmcnt(0)
	global_store_dword v0, v1, s[2:3]
.LBB3_20:
	s_endpgm
	.section	.rodata,"a",@progbits
	.p2align	6, 0x0
	.amdhsa_kernel _ZN9rocsparseL35csrgemm_symbolic_group_reduce_part3ILj256ELj11EiEEvPT1_
		.amdhsa_group_segment_fixed_size 11264
		.amdhsa_private_segment_fixed_size 0
		.amdhsa_kernarg_size 8
		.amdhsa_user_sgpr_count 6
		.amdhsa_user_sgpr_private_segment_buffer 1
		.amdhsa_user_sgpr_dispatch_ptr 0
		.amdhsa_user_sgpr_queue_ptr 0
		.amdhsa_user_sgpr_kernarg_segment_ptr 1
		.amdhsa_user_sgpr_dispatch_id 0
		.amdhsa_user_sgpr_flat_scratch_init 0
		.amdhsa_user_sgpr_private_segment_size 0
		.amdhsa_wavefront_size32 1
		.amdhsa_uses_dynamic_stack 0
		.amdhsa_system_sgpr_private_segment_wavefront_offset 0
		.amdhsa_system_sgpr_workgroup_id_x 1
		.amdhsa_system_sgpr_workgroup_id_y 0
		.amdhsa_system_sgpr_workgroup_id_z 0
		.amdhsa_system_sgpr_workgroup_info 0
		.amdhsa_system_vgpr_workitem_id 0
		.amdhsa_next_free_vgpr 24
		.amdhsa_next_free_sgpr 6
		.amdhsa_reserve_vcc 1
		.amdhsa_reserve_flat_scratch 0
		.amdhsa_float_round_mode_32 0
		.amdhsa_float_round_mode_16_64 0
		.amdhsa_float_denorm_mode_32 3
		.amdhsa_float_denorm_mode_16_64 3
		.amdhsa_dx10_clamp 1
		.amdhsa_ieee_mode 1
		.amdhsa_fp16_overflow 0
		.amdhsa_workgroup_processor_mode 1
		.amdhsa_memory_ordered 1
		.amdhsa_forward_progress 1
		.amdhsa_shared_vgpr_count 0
		.amdhsa_exception_fp_ieee_invalid_op 0
		.amdhsa_exception_fp_denorm_src 0
		.amdhsa_exception_fp_ieee_div_zero 0
		.amdhsa_exception_fp_ieee_overflow 0
		.amdhsa_exception_fp_ieee_underflow 0
		.amdhsa_exception_fp_ieee_inexact 0
		.amdhsa_exception_int_div_zero 0
	.end_amdhsa_kernel
	.section	.text._ZN9rocsparseL35csrgemm_symbolic_group_reduce_part3ILj256ELj11EiEEvPT1_,"axG",@progbits,_ZN9rocsparseL35csrgemm_symbolic_group_reduce_part3ILj256ELj11EiEEvPT1_,comdat
.Lfunc_end3:
	.size	_ZN9rocsparseL35csrgemm_symbolic_group_reduce_part3ILj256ELj11EiEEvPT1_, .Lfunc_end3-_ZN9rocsparseL35csrgemm_symbolic_group_reduce_part3ILj256ELj11EiEEvPT1_
                                        ; -- End function
	.set _ZN9rocsparseL35csrgemm_symbolic_group_reduce_part3ILj256ELj11EiEEvPT1_.num_vgpr, 24
	.set _ZN9rocsparseL35csrgemm_symbolic_group_reduce_part3ILj256ELj11EiEEvPT1_.num_agpr, 0
	.set _ZN9rocsparseL35csrgemm_symbolic_group_reduce_part3ILj256ELj11EiEEvPT1_.numbered_sgpr, 6
	.set _ZN9rocsparseL35csrgemm_symbolic_group_reduce_part3ILj256ELj11EiEEvPT1_.num_named_barrier, 0
	.set _ZN9rocsparseL35csrgemm_symbolic_group_reduce_part3ILj256ELj11EiEEvPT1_.private_seg_size, 0
	.set _ZN9rocsparseL35csrgemm_symbolic_group_reduce_part3ILj256ELj11EiEEvPT1_.uses_vcc, 1
	.set _ZN9rocsparseL35csrgemm_symbolic_group_reduce_part3ILj256ELj11EiEEvPT1_.uses_flat_scratch, 0
	.set _ZN9rocsparseL35csrgemm_symbolic_group_reduce_part3ILj256ELj11EiEEvPT1_.has_dyn_sized_stack, 0
	.set _ZN9rocsparseL35csrgemm_symbolic_group_reduce_part3ILj256ELj11EiEEvPT1_.has_recursion, 0
	.set _ZN9rocsparseL35csrgemm_symbolic_group_reduce_part3ILj256ELj11EiEEvPT1_.has_indirect_call, 0
	.section	.AMDGPU.csdata,"",@progbits
; Kernel info:
; codeLenInByte = 2256
; TotalNumSgprs: 8
; NumVgprs: 24
; ScratchSize: 0
; MemoryBound: 0
; FloatMode: 240
; IeeeMode: 1
; LDSByteSize: 11264 bytes/workgroup (compile time only)
; SGPRBlocks: 0
; VGPRBlocks: 2
; NumSGPRsForWavesPerEU: 8
; NumVGPRsForWavesPerEU: 24
; Occupancy: 16
; WaveLimiterHint : 0
; COMPUTE_PGM_RSRC2:SCRATCH_EN: 0
; COMPUTE_PGM_RSRC2:USER_SGPR: 6
; COMPUTE_PGM_RSRC2:TRAP_HANDLER: 0
; COMPUTE_PGM_RSRC2:TGID_X_EN: 1
; COMPUTE_PGM_RSRC2:TGID_Y_EN: 0
; COMPUTE_PGM_RSRC2:TGID_Z_EN: 0
; COMPUTE_PGM_RSRC2:TIDIG_COMP_CNT: 0
	.section	.text._ZN9rocsparseL32csrgemm_symbolic_fill_wf_per_rowILj256ELj8ELj16ELj137EiiEEvT4_S1_PKS1_S3_PKT3_S3_S6_S3_S6_S3_S6_PS1_21rocsparse_index_base_S8_S8_S8_bb,"axG",@progbits,_ZN9rocsparseL32csrgemm_symbolic_fill_wf_per_rowILj256ELj8ELj16ELj137EiiEEvT4_S1_PKS1_S3_PKT3_S3_S6_S3_S6_S3_S6_PS1_21rocsparse_index_base_S8_S8_S8_bb,comdat
	.globl	_ZN9rocsparseL32csrgemm_symbolic_fill_wf_per_rowILj256ELj8ELj16ELj137EiiEEvT4_S1_PKS1_S3_PKT3_S3_S6_S3_S6_S3_S6_PS1_21rocsparse_index_base_S8_S8_S8_bb ; -- Begin function _ZN9rocsparseL32csrgemm_symbolic_fill_wf_per_rowILj256ELj8ELj16ELj137EiiEEvT4_S1_PKS1_S3_PKT3_S3_S6_S3_S6_S3_S6_PS1_21rocsparse_index_base_S8_S8_S8_bb
	.p2align	8
	.type	_ZN9rocsparseL32csrgemm_symbolic_fill_wf_per_rowILj256ELj8ELj16ELj137EiiEEvT4_S1_PKS1_S3_PKT3_S3_S6_S3_S6_S3_S6_PS1_21rocsparse_index_base_S8_S8_S8_bb,@function
_ZN9rocsparseL32csrgemm_symbolic_fill_wf_per_rowILj256ELj8ELj16ELj137EiiEEvT4_S1_PKS1_S3_PKT3_S3_S6_S3_S6_S3_S6_PS1_21rocsparse_index_base_S8_S8_S8_bb: ; @_ZN9rocsparseL32csrgemm_symbolic_fill_wf_per_rowILj256ELj8ELj16ELj137EiiEEvT4_S1_PKS1_S3_PKT3_S3_S6_S3_S6_S3_S6_PS1_21rocsparse_index_base_S8_S8_S8_bb
; %bb.0:
	s_clause 0x3
	s_load_dwordx8 s[8:15], s[4:5], 0x0
	s_load_dwordx2 s[28:29], s[4:5], 0x50
	s_load_dwordx4 s[24:27], s[4:5], 0x40
	s_load_dwordx8 s[16:23], s[4:5], 0x20
	v_lshrrev_b32_e32 v1, 3, v0
	v_and_b32_e32 v8, 7, v0
	s_mov_b32 s0, 0
	v_lshlrev_b32_e32 v5, 6, v1
	v_or_b32_e32 v7, -8, v8
	v_lshl_or_b32 v6, v8, 2, v5
	v_mov_b32_e32 v3, v7
	v_mov_b32_e32 v0, v6
	s_waitcnt lgkmcnt(0)
	v_mov_b32_e32 v2, s9
.LBB4_1:                                ; =>This Inner Loop Header: Depth=1
	v_add_co_u32 v3, s1, v3, 8
	s_xor_b32 s1, s1, -1
	ds_write_b32 v0, v2
	v_add_nc_u32_e32 v0, 32, v0
	s_and_b32 s1, exec_lo, s1
	s_or_b32 s0, s1, s0
	s_andn2_b32 exec_lo, exec_lo, s0
	s_cbranch_execnz .LBB4_1
; %bb.2:
	s_or_b32 exec_lo, exec_lo, s0
	s_lshl_b32 s0, s6, 5
	s_waitcnt lgkmcnt(0)
	buffer_gl0_inv
	v_and_or_b32 v0, 0x1fffffe0, s0, v1
	s_mov_b32 s0, exec_lo
	v_cmpx_gt_i32_e64 s8, v0
	s_cbranch_execz .LBB4_38
; %bb.3:
	s_cmp_eq_u64 s[12:13], 0
	s_cbranch_scc1 .LBB4_5
; %bb.4:
	s_load_dword s0, s[10:11], 0x0
	s_waitcnt lgkmcnt(0)
	v_add_nc_u32_e32 v0, s0, v0
	v_ashrrev_i32_e32 v1, 31, v0
	v_lshlrev_b64 v[0:1], 2, v[0:1]
	v_add_co_u32 v0, vcc_lo, s12, v0
	v_add_co_ci_u32_e64 v1, null, s13, v1, vcc_lo
	global_load_dword v0, v[0:1], off
.LBB4_5:
	s_clause 0x1
	s_load_dword s6, s[4:5], 0x68
	s_load_dwordx4 s[0:3], s[4:5], 0x58
	s_waitcnt vmcnt(0)
	v_ashrrev_i32_e32 v1, 31, v0
	v_lshlrev_b64 v[0:1], 2, v[0:1]
	s_waitcnt lgkmcnt(0)
	s_bitcmp0_b32 s6, 0
	s_cbranch_scc1 .LBB4_21
; %bb.6:
	v_add_co_u32 v2, vcc_lo, s14, v0
	v_add_co_ci_u32_e64 v3, null, s15, v1, vcc_lo
	v_subrev_nc_u32_e32 v4, s0, v8
	s_mov_b32 s4, exec_lo
	global_load_dwordx2 v[2:3], v[2:3], off
	s_waitcnt vmcnt(0)
	v_subrev_nc_u32_e32 v9, s0, v3
	v_add_nc_u32_e32 v2, v2, v4
	v_cmpx_lt_i32_e64 v2, v9
	s_cbranch_execz .LBB4_20
; %bb.7:
	s_mov_b32 s5, 0
	s_branch .LBB4_9
.LBB4_8:                                ;   in Loop: Header=BB4_9 Depth=1
	s_or_b32 exec_lo, exec_lo, s7
	v_add_nc_u32_e32 v2, 8, v2
	v_cmp_ge_i32_e32 vcc_lo, v2, v9
	s_or_b32 s5, vcc_lo, s5
	s_andn2_b32 exec_lo, exec_lo, s5
	s_cbranch_execz .LBB4_20
.LBB4_9:                                ; =>This Loop Header: Depth=1
                                        ;     Child Loop BB4_12 Depth 2
                                        ;       Child Loop BB4_15 Depth 3
	v_ashrrev_i32_e32 v3, 31, v2
	s_mov_b32 s7, exec_lo
	v_lshlrev_b64 v[3:4], 2, v[2:3]
	v_add_co_u32 v3, vcc_lo, s16, v3
	v_add_co_ci_u32_e64 v4, null, s17, v4, vcc_lo
	global_load_dword v3, v[3:4], off
	s_waitcnt vmcnt(0)
	v_subrev_nc_u32_e32 v3, s0, v3
	v_ashrrev_i32_e32 v4, 31, v3
	v_lshlrev_b64 v[3:4], 2, v[3:4]
	v_add_co_u32 v3, vcc_lo, s18, v3
	v_add_co_ci_u32_e64 v4, null, s19, v4, vcc_lo
	global_load_dwordx2 v[3:4], v[3:4], off
	s_waitcnt vmcnt(0)
	v_cmpx_lt_i32_e64 v3, v4
	s_cbranch_execz .LBB4_8
; %bb.10:                               ;   in Loop: Header=BB4_9 Depth=1
	v_subrev_nc_u32_e32 v10, s1, v4
	v_subrev_nc_u32_e32 v3, s1, v3
	s_mov_b32 s8, 0
	s_branch .LBB4_12
.LBB4_11:                               ;   in Loop: Header=BB4_12 Depth=2
	s_inst_prefetch 0x2
	s_or_b32 exec_lo, exec_lo, s10
	v_add_nc_u32_e32 v3, 1, v3
	v_cmp_ge_i32_e32 vcc_lo, v3, v10
	s_or_b32 s8, vcc_lo, s8
	s_andn2_b32 exec_lo, exec_lo, s8
	s_cbranch_execz .LBB4_8
.LBB4_12:                               ;   Parent Loop BB4_9 Depth=1
                                        ; =>  This Loop Header: Depth=2
                                        ;       Child Loop BB4_15 Depth 3
	v_ashrrev_i32_e32 v4, 31, v3
	s_mov_b32 s10, 0
                                        ; implicit-def: $sgpr11
	v_lshlrev_b64 v[11:12], 2, v[3:4]
	v_add_co_u32 v11, vcc_lo, s20, v11
	v_add_co_ci_u32_e64 v12, null, s21, v12, vcc_lo
	global_load_dword v4, v[11:12], off
	s_waitcnt vmcnt(0)
	v_subrev_nc_u32_e32 v4, s1, v4
	v_lshl_add_u32 v11, v4, 3, v4
	v_and_b32_e32 v11, 15, v11
	s_inst_prefetch 0x1
	s_branch .LBB4_15
	.p2align	6
.LBB4_13:                               ;   in Loop: Header=BB4_15 Depth=3
	s_or_b32 exec_lo, exec_lo, s13
	s_andn2_b32 s11, s11, exec_lo
	s_and_b32 s13, s14, exec_lo
	s_or_b32 s11, s11, s13
.LBB4_14:                               ;   in Loop: Header=BB4_15 Depth=3
	s_or_b32 exec_lo, exec_lo, s12
	s_xor_b32 s12, s11, -1
	s_and_b32 s12, exec_lo, s12
	s_or_b32 s10, s12, s10
	s_andn2_b32 exec_lo, exec_lo, s10
	s_cbranch_execz .LBB4_11
.LBB4_15:                               ;   Parent Loop BB4_9 Depth=1
                                        ;     Parent Loop BB4_12 Depth=2
                                        ; =>    This Inner Loop Header: Depth=3
	v_lshl_add_u32 v12, v11, 2, v5
	s_andn2_b32 s11, s11, exec_lo
	s_mov_b32 s12, exec_lo
	ds_read_b32 v13, v12
	s_waitcnt lgkmcnt(0)
	v_cmpx_ne_u32_e64 v13, v4
	s_cbranch_execz .LBB4_14
; %bb.16:                               ;   in Loop: Header=BB4_15 Depth=3
	s_mov_b32 s13, exec_lo
	v_cmpx_ne_u32_e64 s9, v13
	s_xor_b32 s13, exec_lo, s13
; %bb.17:                               ;   in Loop: Header=BB4_15 Depth=3
	v_add_nc_u32_e32 v11, 1, v11
                                        ; implicit-def: $vgpr12
	v_and_b32_e32 v11, 15, v11
; %bb.18:                               ;   in Loop: Header=BB4_15 Depth=3
	s_or_saveexec_b32 s13, s13
	s_mov_b32 s14, -1
	s_xor_b32 exec_lo, exec_lo, s13
	s_cbranch_execz .LBB4_13
; %bb.19:                               ;   in Loop: Header=BB4_15 Depth=3
	v_mov_b32_e32 v13, s9
	ds_cmpst_rtn_b32 v12, v12, v13, v4
	s_waitcnt lgkmcnt(0)
	v_cmp_ne_u32_e32 vcc_lo, s9, v12
	s_orn2_b32 s14, vcc_lo, exec_lo
	s_branch .LBB4_13
.LBB4_20:
	s_or_b32 exec_lo, exec_lo, s4
.LBB4_21:
	s_bfe_u32 s0, s6, 0x10008
	s_cmp_eq_u32 s0, 0
	s_cbranch_scc1 .LBB4_34
; %bb.22:
	v_add_co_u32 v2, vcc_lo, s22, v0
	v_add_co_ci_u32_e64 v3, null, s23, v1, vcc_lo
	v_subrev_nc_u32_e32 v8, s3, v8
	s_mov_b32 s0, exec_lo
	global_load_dwordx2 v[2:3], v[2:3], off
	s_waitcnt vmcnt(0)
	v_subrev_nc_u32_e32 v4, s3, v3
	v_add_nc_u32_e32 v2, v2, v8
	v_cmpx_lt_i32_e64 v2, v4
	s_cbranch_execz .LBB4_33
; %bb.23:
	s_mov_b32 s1, 0
	s_branch .LBB4_25
.LBB4_24:                               ;   in Loop: Header=BB4_25 Depth=1
	s_inst_prefetch 0x2
	s_or_b32 exec_lo, exec_lo, s4
	v_add_nc_u32_e32 v2, 8, v2
	v_cmp_ge_i32_e32 vcc_lo, v2, v4
	s_or_b32 s1, vcc_lo, s1
	s_andn2_b32 exec_lo, exec_lo, s1
	s_cbranch_execz .LBB4_33
.LBB4_25:                               ; =>This Loop Header: Depth=1
                                        ;     Child Loop BB4_28 Depth 2
	v_ashrrev_i32_e32 v3, 31, v2
	s_mov_b32 s4, 0
                                        ; implicit-def: $sgpr5
	v_lshlrev_b64 v[8:9], 2, v[2:3]
	v_add_co_u32 v8, vcc_lo, s24, v8
	v_add_co_ci_u32_e64 v9, null, s25, v9, vcc_lo
	global_load_dword v3, v[8:9], off
	s_waitcnt vmcnt(0)
	v_subrev_nc_u32_e32 v3, s3, v3
	v_lshl_add_u32 v8, v3, 3, v3
	v_and_b32_e32 v8, 15, v8
	s_inst_prefetch 0x1
	s_branch .LBB4_28
	.p2align	6
.LBB4_26:                               ;   in Loop: Header=BB4_28 Depth=2
	s_or_b32 exec_lo, exec_lo, s7
	s_andn2_b32 s5, s5, exec_lo
	s_and_b32 s7, s8, exec_lo
	s_or_b32 s5, s5, s7
.LBB4_27:                               ;   in Loop: Header=BB4_28 Depth=2
	s_or_b32 exec_lo, exec_lo, s6
	s_xor_b32 s6, s5, -1
	s_and_b32 s6, exec_lo, s6
	s_or_b32 s4, s6, s4
	s_andn2_b32 exec_lo, exec_lo, s4
	s_cbranch_execz .LBB4_24
.LBB4_28:                               ;   Parent Loop BB4_25 Depth=1
                                        ; =>  This Inner Loop Header: Depth=2
	v_lshl_add_u32 v9, v8, 2, v5
	s_andn2_b32 s5, s5, exec_lo
	s_mov_b32 s6, exec_lo
	ds_read_b32 v10, v9
	s_waitcnt lgkmcnt(0)
	v_cmpx_ne_u32_e64 v10, v3
	s_cbranch_execz .LBB4_27
; %bb.29:                               ;   in Loop: Header=BB4_28 Depth=2
	s_mov_b32 s7, exec_lo
	v_cmpx_ne_u32_e64 s9, v10
	s_xor_b32 s7, exec_lo, s7
; %bb.30:                               ;   in Loop: Header=BB4_28 Depth=2
	v_add_nc_u32_e32 v8, 1, v8
                                        ; implicit-def: $vgpr9
	v_and_b32_e32 v8, 15, v8
; %bb.31:                               ;   in Loop: Header=BB4_28 Depth=2
	s_or_saveexec_b32 s7, s7
	s_mov_b32 s8, -1
	s_xor_b32 exec_lo, exec_lo, s7
	s_cbranch_execz .LBB4_26
; %bb.32:                               ;   in Loop: Header=BB4_28 Depth=2
	v_mov_b32_e32 v10, s9
	ds_cmpst_rtn_b32 v9, v9, v10, v3
	s_waitcnt lgkmcnt(0)
	v_cmp_ne_u32_e32 vcc_lo, s9, v9
	s_orn2_b32 s8, vcc_lo, exec_lo
	s_branch .LBB4_26
.LBB4_33:
	s_or_b32 exec_lo, exec_lo, s0
.LBB4_34:
	v_add_co_u32 v0, vcc_lo, s26, v0
	v_add_co_ci_u32_e64 v1, null, s27, v1, vcc_lo
	buffer_gl0_inv
	s_mov_b32 s0, 0
	global_load_dword v0, v[0:1], off
	s_waitcnt vmcnt(0)
	v_subrev_nc_u32_e32 v0, s2, v0
	s_branch .LBB4_36
.LBB4_35:                               ;   in Loop: Header=BB4_36 Depth=1
	s_or_b32 exec_lo, exec_lo, s1
	v_add_co_u32 v7, s1, v7, 8
	s_xor_b32 s1, s1, -1
	v_add_nc_u32_e32 v6, 32, v6
	s_and_b32 s1, exec_lo, s1
	s_or_b32 s0, s1, s0
	s_andn2_b32 exec_lo, exec_lo, s0
	s_cbranch_execz .LBB4_38
.LBB4_36:                               ; =>This Inner Loop Header: Depth=1
	ds_read_b32 v1, v6
	s_mov_b32 s1, exec_lo
	s_waitcnt lgkmcnt(0)
	v_cmpx_gt_i32_e64 s9, v1
	s_cbranch_execz .LBB4_35
; %bb.37:                               ;   in Loop: Header=BB4_36 Depth=1
	ds_read_b128 v[8:11], v5
	ds_read_b128 v[12:15], v5 offset:16
	ds_read_b128 v[16:19], v5 offset:32
	;; [unrolled: 1-line block ×3, first 2 shown]
	s_waitcnt lgkmcnt(3)
	v_cmp_gt_i32_e32 vcc_lo, v1, v8
	v_cndmask_b32_e64 v2, 0, 1, vcc_lo
	v_cmp_gt_i32_e32 vcc_lo, v1, v10
	v_cndmask_b32_e64 v3, 0, 1, vcc_lo
	v_cmp_gt_i32_e32 vcc_lo, v1, v9
	v_add_co_ci_u32_e64 v2, null, v0, v2, vcc_lo
	s_waitcnt lgkmcnt(2)
	v_cmp_gt_i32_e32 vcc_lo, v1, v12
	v_cndmask_b32_e64 v4, 0, 1, vcc_lo
	v_cmp_gt_i32_e32 vcc_lo, v1, v11
	v_add_co_ci_u32_e64 v2, null, v2, v3, vcc_lo
	v_cmp_gt_i32_e32 vcc_lo, v1, v14
	v_cndmask_b32_e64 v3, 0, 1, vcc_lo
	v_cmp_gt_i32_e32 vcc_lo, v1, v13
	v_add_co_ci_u32_e64 v2, null, v2, v4, vcc_lo
	s_waitcnt lgkmcnt(1)
	v_cmp_gt_i32_e32 vcc_lo, v1, v16
	v_cndmask_b32_e64 v4, 0, 1, vcc_lo
	v_cmp_gt_i32_e32 vcc_lo, v1, v15
	v_add_co_ci_u32_e64 v2, null, v2, v3, vcc_lo
	;; [unrolled: 9-line block ×3, first 2 shown]
	v_cmp_gt_i32_e32 vcc_lo, v1, v22
	v_cndmask_b32_e64 v3, 0, 1, vcc_lo
	v_cmp_gt_i32_e32 vcc_lo, v1, v21
	v_add_co_ci_u32_e64 v2, null, v2, v4, vcc_lo
	v_cmp_gt_i32_e32 vcc_lo, v1, v23
	v_add_nc_u32_e32 v4, s2, v1
	v_add_co_ci_u32_e64 v2, null, v2, v3, vcc_lo
	v_ashrrev_i32_e32 v3, 31, v2
	v_lshlrev_b64 v[2:3], 2, v[2:3]
	v_add_co_u32 v1, vcc_lo, s28, v2
	v_add_co_ci_u32_e64 v2, null, s29, v3, vcc_lo
	global_store_dword v[1:2], v4, off
	s_branch .LBB4_35
.LBB4_38:
	s_endpgm
	.section	.rodata,"a",@progbits
	.p2align	6, 0x0
	.amdhsa_kernel _ZN9rocsparseL32csrgemm_symbolic_fill_wf_per_rowILj256ELj8ELj16ELj137EiiEEvT4_S1_PKS1_S3_PKT3_S3_S6_S3_S6_S3_S6_PS1_21rocsparse_index_base_S8_S8_S8_bb
		.amdhsa_group_segment_fixed_size 2048
		.amdhsa_private_segment_fixed_size 0
		.amdhsa_kernarg_size 108
		.amdhsa_user_sgpr_count 6
		.amdhsa_user_sgpr_private_segment_buffer 1
		.amdhsa_user_sgpr_dispatch_ptr 0
		.amdhsa_user_sgpr_queue_ptr 0
		.amdhsa_user_sgpr_kernarg_segment_ptr 1
		.amdhsa_user_sgpr_dispatch_id 0
		.amdhsa_user_sgpr_flat_scratch_init 0
		.amdhsa_user_sgpr_private_segment_size 0
		.amdhsa_wavefront_size32 1
		.amdhsa_uses_dynamic_stack 0
		.amdhsa_system_sgpr_private_segment_wavefront_offset 0
		.amdhsa_system_sgpr_workgroup_id_x 1
		.amdhsa_system_sgpr_workgroup_id_y 0
		.amdhsa_system_sgpr_workgroup_id_z 0
		.amdhsa_system_sgpr_workgroup_info 0
		.amdhsa_system_vgpr_workitem_id 0
		.amdhsa_next_free_vgpr 24
		.amdhsa_next_free_sgpr 30
		.amdhsa_reserve_vcc 1
		.amdhsa_reserve_flat_scratch 0
		.amdhsa_float_round_mode_32 0
		.amdhsa_float_round_mode_16_64 0
		.amdhsa_float_denorm_mode_32 3
		.amdhsa_float_denorm_mode_16_64 3
		.amdhsa_dx10_clamp 1
		.amdhsa_ieee_mode 1
		.amdhsa_fp16_overflow 0
		.amdhsa_workgroup_processor_mode 1
		.amdhsa_memory_ordered 1
		.amdhsa_forward_progress 1
		.amdhsa_shared_vgpr_count 0
		.amdhsa_exception_fp_ieee_invalid_op 0
		.amdhsa_exception_fp_denorm_src 0
		.amdhsa_exception_fp_ieee_div_zero 0
		.amdhsa_exception_fp_ieee_overflow 0
		.amdhsa_exception_fp_ieee_underflow 0
		.amdhsa_exception_fp_ieee_inexact 0
		.amdhsa_exception_int_div_zero 0
	.end_amdhsa_kernel
	.section	.text._ZN9rocsparseL32csrgemm_symbolic_fill_wf_per_rowILj256ELj8ELj16ELj137EiiEEvT4_S1_PKS1_S3_PKT3_S3_S6_S3_S6_S3_S6_PS1_21rocsparse_index_base_S8_S8_S8_bb,"axG",@progbits,_ZN9rocsparseL32csrgemm_symbolic_fill_wf_per_rowILj256ELj8ELj16ELj137EiiEEvT4_S1_PKS1_S3_PKT3_S3_S6_S3_S6_S3_S6_PS1_21rocsparse_index_base_S8_S8_S8_bb,comdat
.Lfunc_end4:
	.size	_ZN9rocsparseL32csrgemm_symbolic_fill_wf_per_rowILj256ELj8ELj16ELj137EiiEEvT4_S1_PKS1_S3_PKT3_S3_S6_S3_S6_S3_S6_PS1_21rocsparse_index_base_S8_S8_S8_bb, .Lfunc_end4-_ZN9rocsparseL32csrgemm_symbolic_fill_wf_per_rowILj256ELj8ELj16ELj137EiiEEvT4_S1_PKS1_S3_PKT3_S3_S6_S3_S6_S3_S6_PS1_21rocsparse_index_base_S8_S8_S8_bb
                                        ; -- End function
	.set _ZN9rocsparseL32csrgemm_symbolic_fill_wf_per_rowILj256ELj8ELj16ELj137EiiEEvT4_S1_PKS1_S3_PKT3_S3_S6_S3_S6_S3_S6_PS1_21rocsparse_index_base_S8_S8_S8_bb.num_vgpr, 24
	.set _ZN9rocsparseL32csrgemm_symbolic_fill_wf_per_rowILj256ELj8ELj16ELj137EiiEEvT4_S1_PKS1_S3_PKT3_S3_S6_S3_S6_S3_S6_PS1_21rocsparse_index_base_S8_S8_S8_bb.num_agpr, 0
	.set _ZN9rocsparseL32csrgemm_symbolic_fill_wf_per_rowILj256ELj8ELj16ELj137EiiEEvT4_S1_PKS1_S3_PKT3_S3_S6_S3_S6_S3_S6_PS1_21rocsparse_index_base_S8_S8_S8_bb.numbered_sgpr, 30
	.set _ZN9rocsparseL32csrgemm_symbolic_fill_wf_per_rowILj256ELj8ELj16ELj137EiiEEvT4_S1_PKS1_S3_PKT3_S3_S6_S3_S6_S3_S6_PS1_21rocsparse_index_base_S8_S8_S8_bb.num_named_barrier, 0
	.set _ZN9rocsparseL32csrgemm_symbolic_fill_wf_per_rowILj256ELj8ELj16ELj137EiiEEvT4_S1_PKS1_S3_PKT3_S3_S6_S3_S6_S3_S6_PS1_21rocsparse_index_base_S8_S8_S8_bb.private_seg_size, 0
	.set _ZN9rocsparseL32csrgemm_symbolic_fill_wf_per_rowILj256ELj8ELj16ELj137EiiEEvT4_S1_PKS1_S3_PKT3_S3_S6_S3_S6_S3_S6_PS1_21rocsparse_index_base_S8_S8_S8_bb.uses_vcc, 1
	.set _ZN9rocsparseL32csrgemm_symbolic_fill_wf_per_rowILj256ELj8ELj16ELj137EiiEEvT4_S1_PKS1_S3_PKT3_S3_S6_S3_S6_S3_S6_PS1_21rocsparse_index_base_S8_S8_S8_bb.uses_flat_scratch, 0
	.set _ZN9rocsparseL32csrgemm_symbolic_fill_wf_per_rowILj256ELj8ELj16ELj137EiiEEvT4_S1_PKS1_S3_PKT3_S3_S6_S3_S6_S3_S6_PS1_21rocsparse_index_base_S8_S8_S8_bb.has_dyn_sized_stack, 0
	.set _ZN9rocsparseL32csrgemm_symbolic_fill_wf_per_rowILj256ELj8ELj16ELj137EiiEEvT4_S1_PKS1_S3_PKT3_S3_S6_S3_S6_S3_S6_PS1_21rocsparse_index_base_S8_S8_S8_bb.has_recursion, 0
	.set _ZN9rocsparseL32csrgemm_symbolic_fill_wf_per_rowILj256ELj8ELj16ELj137EiiEEvT4_S1_PKS1_S3_PKT3_S3_S6_S3_S6_S3_S6_PS1_21rocsparse_index_base_S8_S8_S8_bb.has_indirect_call, 0
	.section	.AMDGPU.csdata,"",@progbits
; Kernel info:
; codeLenInByte = 1512
; TotalNumSgprs: 32
; NumVgprs: 24
; ScratchSize: 0
; MemoryBound: 0
; FloatMode: 240
; IeeeMode: 1
; LDSByteSize: 2048 bytes/workgroup (compile time only)
; SGPRBlocks: 0
; VGPRBlocks: 2
; NumSGPRsForWavesPerEU: 32
; NumVGPRsForWavesPerEU: 24
; Occupancy: 16
; WaveLimiterHint : 1
; COMPUTE_PGM_RSRC2:SCRATCH_EN: 0
; COMPUTE_PGM_RSRC2:USER_SGPR: 6
; COMPUTE_PGM_RSRC2:TRAP_HANDLER: 0
; COMPUTE_PGM_RSRC2:TGID_X_EN: 1
; COMPUTE_PGM_RSRC2:TGID_Y_EN: 0
; COMPUTE_PGM_RSRC2:TGID_Z_EN: 0
; COMPUTE_PGM_RSRC2:TIDIG_COMP_CNT: 0
	.section	.text._ZN9rocsparseL32csrgemm_symbolic_fill_wf_per_rowILj256ELj16ELj32ELj137EiiEEvT4_S1_PKS1_S3_PKT3_S3_S6_S3_S6_S3_S6_PS1_21rocsparse_index_base_S8_S8_S8_bb,"axG",@progbits,_ZN9rocsparseL32csrgemm_symbolic_fill_wf_per_rowILj256ELj16ELj32ELj137EiiEEvT4_S1_PKS1_S3_PKT3_S3_S6_S3_S6_S3_S6_PS1_21rocsparse_index_base_S8_S8_S8_bb,comdat
	.globl	_ZN9rocsparseL32csrgemm_symbolic_fill_wf_per_rowILj256ELj16ELj32ELj137EiiEEvT4_S1_PKS1_S3_PKT3_S3_S6_S3_S6_S3_S6_PS1_21rocsparse_index_base_S8_S8_S8_bb ; -- Begin function _ZN9rocsparseL32csrgemm_symbolic_fill_wf_per_rowILj256ELj16ELj32ELj137EiiEEvT4_S1_PKS1_S3_PKT3_S3_S6_S3_S6_S3_S6_PS1_21rocsparse_index_base_S8_S8_S8_bb
	.p2align	8
	.type	_ZN9rocsparseL32csrgemm_symbolic_fill_wf_per_rowILj256ELj16ELj32ELj137EiiEEvT4_S1_PKS1_S3_PKT3_S3_S6_S3_S6_S3_S6_PS1_21rocsparse_index_base_S8_S8_S8_bb,@function
_ZN9rocsparseL32csrgemm_symbolic_fill_wf_per_rowILj256ELj16ELj32ELj137EiiEEvT4_S1_PKS1_S3_PKT3_S3_S6_S3_S6_S3_S6_PS1_21rocsparse_index_base_S8_S8_S8_bb: ; @_ZN9rocsparseL32csrgemm_symbolic_fill_wf_per_rowILj256ELj16ELj32ELj137EiiEEvT4_S1_PKS1_S3_PKT3_S3_S6_S3_S6_S3_S6_PS1_21rocsparse_index_base_S8_S8_S8_bb
; %bb.0:
	s_clause 0x3
	s_load_dwordx8 s[8:15], s[4:5], 0x0
	s_load_dwordx2 s[28:29], s[4:5], 0x50
	s_load_dwordx4 s[24:27], s[4:5], 0x40
	s_load_dwordx8 s[16:23], s[4:5], 0x20
	v_lshrrev_b32_e32 v1, 4, v0
	v_and_b32_e32 v8, 15, v0
	s_mov_b32 s0, 0
	v_lshlrev_b32_e32 v5, 7, v1
	v_or_b32_e32 v7, -16, v8
	v_lshl_or_b32 v6, v8, 2, v5
	v_mov_b32_e32 v3, v7
	v_mov_b32_e32 v0, v6
	s_waitcnt lgkmcnt(0)
	v_mov_b32_e32 v2, s9
.LBB5_1:                                ; =>This Inner Loop Header: Depth=1
	v_add_co_u32 v3, s1, v3, 16
	s_xor_b32 s1, s1, -1
	ds_write_b32 v0, v2
	v_add_nc_u32_e32 v0, 64, v0
	s_and_b32 s1, exec_lo, s1
	s_or_b32 s0, s1, s0
	s_andn2_b32 exec_lo, exec_lo, s0
	s_cbranch_execnz .LBB5_1
; %bb.2:
	s_or_b32 exec_lo, exec_lo, s0
	s_lshl_b32 s0, s6, 4
	s_waitcnt lgkmcnt(0)
	buffer_gl0_inv
	v_and_or_b32 v0, 0xffffff0, s0, v1
	s_mov_b32 s0, exec_lo
	v_cmpx_gt_i32_e64 s8, v0
	s_cbranch_execz .LBB5_38
; %bb.3:
	s_cmp_eq_u64 s[12:13], 0
	s_cbranch_scc1 .LBB5_5
; %bb.4:
	s_load_dword s0, s[10:11], 0x0
	s_waitcnt lgkmcnt(0)
	v_add_nc_u32_e32 v0, s0, v0
	v_ashrrev_i32_e32 v1, 31, v0
	v_lshlrev_b64 v[0:1], 2, v[0:1]
	v_add_co_u32 v0, vcc_lo, s12, v0
	v_add_co_ci_u32_e64 v1, null, s13, v1, vcc_lo
	global_load_dword v0, v[0:1], off
.LBB5_5:
	s_clause 0x1
	s_load_dword s6, s[4:5], 0x68
	s_load_dwordx4 s[0:3], s[4:5], 0x58
	s_waitcnt vmcnt(0)
	v_ashrrev_i32_e32 v1, 31, v0
	v_lshlrev_b64 v[0:1], 2, v[0:1]
	s_waitcnt lgkmcnt(0)
	s_bitcmp0_b32 s6, 0
	s_cbranch_scc1 .LBB5_21
; %bb.6:
	v_add_co_u32 v2, vcc_lo, s14, v0
	v_add_co_ci_u32_e64 v3, null, s15, v1, vcc_lo
	v_subrev_nc_u32_e32 v4, s0, v8
	s_mov_b32 s4, exec_lo
	global_load_dwordx2 v[2:3], v[2:3], off
	s_waitcnt vmcnt(0)
	v_subrev_nc_u32_e32 v9, s0, v3
	v_add_nc_u32_e32 v2, v2, v4
	v_cmpx_lt_i32_e64 v2, v9
	s_cbranch_execz .LBB5_20
; %bb.7:
	s_mov_b32 s5, 0
	s_branch .LBB5_9
.LBB5_8:                                ;   in Loop: Header=BB5_9 Depth=1
	s_or_b32 exec_lo, exec_lo, s7
	v_add_nc_u32_e32 v2, 16, v2
	v_cmp_ge_i32_e32 vcc_lo, v2, v9
	s_or_b32 s5, vcc_lo, s5
	s_andn2_b32 exec_lo, exec_lo, s5
	s_cbranch_execz .LBB5_20
.LBB5_9:                                ; =>This Loop Header: Depth=1
                                        ;     Child Loop BB5_12 Depth 2
                                        ;       Child Loop BB5_15 Depth 3
	v_ashrrev_i32_e32 v3, 31, v2
	s_mov_b32 s7, exec_lo
	v_lshlrev_b64 v[3:4], 2, v[2:3]
	v_add_co_u32 v3, vcc_lo, s16, v3
	v_add_co_ci_u32_e64 v4, null, s17, v4, vcc_lo
	global_load_dword v3, v[3:4], off
	s_waitcnt vmcnt(0)
	v_subrev_nc_u32_e32 v3, s0, v3
	v_ashrrev_i32_e32 v4, 31, v3
	v_lshlrev_b64 v[3:4], 2, v[3:4]
	v_add_co_u32 v3, vcc_lo, s18, v3
	v_add_co_ci_u32_e64 v4, null, s19, v4, vcc_lo
	global_load_dwordx2 v[3:4], v[3:4], off
	s_waitcnt vmcnt(0)
	v_cmpx_lt_i32_e64 v3, v4
	s_cbranch_execz .LBB5_8
; %bb.10:                               ;   in Loop: Header=BB5_9 Depth=1
	v_subrev_nc_u32_e32 v10, s1, v4
	v_subrev_nc_u32_e32 v3, s1, v3
	s_mov_b32 s8, 0
	s_branch .LBB5_12
.LBB5_11:                               ;   in Loop: Header=BB5_12 Depth=2
	s_inst_prefetch 0x2
	s_or_b32 exec_lo, exec_lo, s10
	v_add_nc_u32_e32 v3, 1, v3
	v_cmp_ge_i32_e32 vcc_lo, v3, v10
	s_or_b32 s8, vcc_lo, s8
	s_andn2_b32 exec_lo, exec_lo, s8
	s_cbranch_execz .LBB5_8
.LBB5_12:                               ;   Parent Loop BB5_9 Depth=1
                                        ; =>  This Loop Header: Depth=2
                                        ;       Child Loop BB5_15 Depth 3
	v_ashrrev_i32_e32 v4, 31, v3
	s_mov_b32 s10, 0
                                        ; implicit-def: $sgpr11
	v_lshlrev_b64 v[11:12], 2, v[3:4]
	v_add_co_u32 v11, vcc_lo, s20, v11
	v_add_co_ci_u32_e64 v12, null, s21, v12, vcc_lo
	global_load_dword v4, v[11:12], off
	s_waitcnt vmcnt(0)
	v_subrev_nc_u32_e32 v4, s1, v4
	v_lshl_add_u32 v11, v4, 3, v4
	v_and_b32_e32 v11, 31, v11
	s_inst_prefetch 0x1
	s_branch .LBB5_15
	.p2align	6
.LBB5_13:                               ;   in Loop: Header=BB5_15 Depth=3
	s_or_b32 exec_lo, exec_lo, s13
	s_andn2_b32 s11, s11, exec_lo
	s_and_b32 s13, s14, exec_lo
	s_or_b32 s11, s11, s13
.LBB5_14:                               ;   in Loop: Header=BB5_15 Depth=3
	s_or_b32 exec_lo, exec_lo, s12
	s_xor_b32 s12, s11, -1
	s_and_b32 s12, exec_lo, s12
	s_or_b32 s10, s12, s10
	s_andn2_b32 exec_lo, exec_lo, s10
	s_cbranch_execz .LBB5_11
.LBB5_15:                               ;   Parent Loop BB5_9 Depth=1
                                        ;     Parent Loop BB5_12 Depth=2
                                        ; =>    This Inner Loop Header: Depth=3
	v_lshl_add_u32 v12, v11, 2, v5
	s_andn2_b32 s11, s11, exec_lo
	s_mov_b32 s12, exec_lo
	ds_read_b32 v13, v12
	s_waitcnt lgkmcnt(0)
	v_cmpx_ne_u32_e64 v13, v4
	s_cbranch_execz .LBB5_14
; %bb.16:                               ;   in Loop: Header=BB5_15 Depth=3
	s_mov_b32 s13, exec_lo
	v_cmpx_ne_u32_e64 s9, v13
	s_xor_b32 s13, exec_lo, s13
; %bb.17:                               ;   in Loop: Header=BB5_15 Depth=3
	v_add_nc_u32_e32 v11, 1, v11
                                        ; implicit-def: $vgpr12
	v_and_b32_e32 v11, 31, v11
; %bb.18:                               ;   in Loop: Header=BB5_15 Depth=3
	s_or_saveexec_b32 s13, s13
	s_mov_b32 s14, -1
	s_xor_b32 exec_lo, exec_lo, s13
	s_cbranch_execz .LBB5_13
; %bb.19:                               ;   in Loop: Header=BB5_15 Depth=3
	v_mov_b32_e32 v13, s9
	ds_cmpst_rtn_b32 v12, v12, v13, v4
	s_waitcnt lgkmcnt(0)
	v_cmp_ne_u32_e32 vcc_lo, s9, v12
	s_orn2_b32 s14, vcc_lo, exec_lo
	s_branch .LBB5_13
.LBB5_20:
	s_or_b32 exec_lo, exec_lo, s4
.LBB5_21:
	s_bfe_u32 s0, s6, 0x10008
	s_cmp_eq_u32 s0, 0
	s_cbranch_scc1 .LBB5_34
; %bb.22:
	v_add_co_u32 v2, vcc_lo, s22, v0
	v_add_co_ci_u32_e64 v3, null, s23, v1, vcc_lo
	v_subrev_nc_u32_e32 v8, s3, v8
	s_mov_b32 s0, exec_lo
	global_load_dwordx2 v[2:3], v[2:3], off
	s_waitcnt vmcnt(0)
	v_subrev_nc_u32_e32 v4, s3, v3
	v_add_nc_u32_e32 v2, v2, v8
	v_cmpx_lt_i32_e64 v2, v4
	s_cbranch_execz .LBB5_33
; %bb.23:
	s_mov_b32 s1, 0
	s_branch .LBB5_25
.LBB5_24:                               ;   in Loop: Header=BB5_25 Depth=1
	s_inst_prefetch 0x2
	s_or_b32 exec_lo, exec_lo, s4
	v_add_nc_u32_e32 v2, 16, v2
	v_cmp_ge_i32_e32 vcc_lo, v2, v4
	s_or_b32 s1, vcc_lo, s1
	s_andn2_b32 exec_lo, exec_lo, s1
	s_cbranch_execz .LBB5_33
.LBB5_25:                               ; =>This Loop Header: Depth=1
                                        ;     Child Loop BB5_28 Depth 2
	v_ashrrev_i32_e32 v3, 31, v2
	s_mov_b32 s4, 0
                                        ; implicit-def: $sgpr5
	v_lshlrev_b64 v[8:9], 2, v[2:3]
	v_add_co_u32 v8, vcc_lo, s24, v8
	v_add_co_ci_u32_e64 v9, null, s25, v9, vcc_lo
	global_load_dword v3, v[8:9], off
	s_waitcnt vmcnt(0)
	v_subrev_nc_u32_e32 v3, s3, v3
	v_lshl_add_u32 v8, v3, 3, v3
	v_and_b32_e32 v8, 31, v8
	s_inst_prefetch 0x1
	s_branch .LBB5_28
	.p2align	6
.LBB5_26:                               ;   in Loop: Header=BB5_28 Depth=2
	s_or_b32 exec_lo, exec_lo, s7
	s_andn2_b32 s5, s5, exec_lo
	s_and_b32 s7, s8, exec_lo
	s_or_b32 s5, s5, s7
.LBB5_27:                               ;   in Loop: Header=BB5_28 Depth=2
	s_or_b32 exec_lo, exec_lo, s6
	s_xor_b32 s6, s5, -1
	s_and_b32 s6, exec_lo, s6
	s_or_b32 s4, s6, s4
	s_andn2_b32 exec_lo, exec_lo, s4
	s_cbranch_execz .LBB5_24
.LBB5_28:                               ;   Parent Loop BB5_25 Depth=1
                                        ; =>  This Inner Loop Header: Depth=2
	v_lshl_add_u32 v9, v8, 2, v5
	s_andn2_b32 s5, s5, exec_lo
	s_mov_b32 s6, exec_lo
	ds_read_b32 v10, v9
	s_waitcnt lgkmcnt(0)
	v_cmpx_ne_u32_e64 v10, v3
	s_cbranch_execz .LBB5_27
; %bb.29:                               ;   in Loop: Header=BB5_28 Depth=2
	s_mov_b32 s7, exec_lo
	v_cmpx_ne_u32_e64 s9, v10
	s_xor_b32 s7, exec_lo, s7
; %bb.30:                               ;   in Loop: Header=BB5_28 Depth=2
	v_add_nc_u32_e32 v8, 1, v8
                                        ; implicit-def: $vgpr9
	v_and_b32_e32 v8, 31, v8
; %bb.31:                               ;   in Loop: Header=BB5_28 Depth=2
	s_or_saveexec_b32 s7, s7
	s_mov_b32 s8, -1
	s_xor_b32 exec_lo, exec_lo, s7
	s_cbranch_execz .LBB5_26
; %bb.32:                               ;   in Loop: Header=BB5_28 Depth=2
	v_mov_b32_e32 v10, s9
	ds_cmpst_rtn_b32 v9, v9, v10, v3
	s_waitcnt lgkmcnt(0)
	v_cmp_ne_u32_e32 vcc_lo, s9, v9
	s_orn2_b32 s8, vcc_lo, exec_lo
	s_branch .LBB5_26
.LBB5_33:
	s_or_b32 exec_lo, exec_lo, s0
.LBB5_34:
	v_add_co_u32 v0, vcc_lo, s26, v0
	v_add_co_ci_u32_e64 v1, null, s27, v1, vcc_lo
	buffer_gl0_inv
	s_mov_b32 s0, 0
	global_load_dword v0, v[0:1], off
	s_waitcnt vmcnt(0)
	v_subrev_nc_u32_e32 v0, s2, v0
	s_branch .LBB5_36
.LBB5_35:                               ;   in Loop: Header=BB5_36 Depth=1
	s_or_b32 exec_lo, exec_lo, s1
	v_add_co_u32 v7, s1, v7, 16
	s_xor_b32 s1, s1, -1
	v_add_nc_u32_e32 v6, 64, v6
	s_and_b32 s1, exec_lo, s1
	s_or_b32 s0, s1, s0
	s_andn2_b32 exec_lo, exec_lo, s0
	s_cbranch_execz .LBB5_38
.LBB5_36:                               ; =>This Inner Loop Header: Depth=1
	ds_read_b32 v1, v6
	s_mov_b32 s1, exec_lo
	s_waitcnt lgkmcnt(0)
	v_cmpx_gt_i32_e64 s9, v1
	s_cbranch_execz .LBB5_35
; %bb.37:                               ;   in Loop: Header=BB5_36 Depth=1
	ds_read_b128 v[8:11], v5
	ds_read_b128 v[12:15], v5 offset:16
	ds_read_b128 v[16:19], v5 offset:32
	;; [unrolled: 1-line block ×7, first 2 shown]
	s_waitcnt lgkmcnt(7)
	v_cmp_gt_i32_e32 vcc_lo, v1, v8
	v_cndmask_b32_e64 v2, 0, 1, vcc_lo
	v_cmp_gt_i32_e32 vcc_lo, v1, v10
	v_cndmask_b32_e64 v3, 0, 1, vcc_lo
	v_cmp_gt_i32_e32 vcc_lo, v1, v9
	v_add_co_ci_u32_e64 v2, null, v0, v2, vcc_lo
	s_waitcnt lgkmcnt(6)
	v_cmp_gt_i32_e32 vcc_lo, v1, v12
	v_cndmask_b32_e64 v4, 0, 1, vcc_lo
	v_cmp_gt_i32_e32 vcc_lo, v1, v11
	v_add_co_ci_u32_e64 v2, null, v2, v3, vcc_lo
	v_cmp_gt_i32_e32 vcc_lo, v1, v14
	v_cndmask_b32_e64 v3, 0, 1, vcc_lo
	v_cmp_gt_i32_e32 vcc_lo, v1, v13
	v_add_co_ci_u32_e64 v2, null, v2, v4, vcc_lo
	s_waitcnt lgkmcnt(5)
	v_cmp_gt_i32_e32 vcc_lo, v1, v16
	v_cndmask_b32_e64 v4, 0, 1, vcc_lo
	v_cmp_gt_i32_e32 vcc_lo, v1, v15
	v_add_co_ci_u32_e64 v2, null, v2, v3, vcc_lo
	v_cmp_gt_i32_e32 vcc_lo, v1, v18
	v_cndmask_b32_e64 v3, 0, 1, vcc_lo
	v_cmp_gt_i32_e32 vcc_lo, v1, v17
	v_add_co_ci_u32_e64 v2, null, v2, v4, vcc_lo
	s_waitcnt lgkmcnt(4)
	v_cmp_gt_i32_e32 vcc_lo, v1, v20
	v_cndmask_b32_e64 v4, 0, 1, vcc_lo
	v_cmp_gt_i32_e32 vcc_lo, v1, v19
	v_add_co_ci_u32_e64 v2, null, v2, v3, vcc_lo
	v_cmp_gt_i32_e32 vcc_lo, v1, v22
	v_cndmask_b32_e64 v3, 0, 1, vcc_lo
	v_cmp_gt_i32_e32 vcc_lo, v1, v21
	v_add_co_ci_u32_e64 v2, null, v2, v4, vcc_lo
	s_waitcnt lgkmcnt(3)
	v_cmp_gt_i32_e32 vcc_lo, v1, v24
	v_cndmask_b32_e64 v4, 0, 1, vcc_lo
	v_cmp_gt_i32_e32 vcc_lo, v1, v23
	v_add_co_ci_u32_e64 v2, null, v2, v3, vcc_lo
	v_cmp_gt_i32_e32 vcc_lo, v1, v26
	v_cndmask_b32_e64 v3, 0, 1, vcc_lo
	v_cmp_gt_i32_e32 vcc_lo, v1, v25
	v_add_co_ci_u32_e64 v2, null, v2, v4, vcc_lo
	s_waitcnt lgkmcnt(2)
	v_cmp_gt_i32_e32 vcc_lo, v1, v28
	v_cndmask_b32_e64 v4, 0, 1, vcc_lo
	v_cmp_gt_i32_e32 vcc_lo, v1, v27
	v_add_co_ci_u32_e64 v2, null, v2, v3, vcc_lo
	v_cmp_gt_i32_e32 vcc_lo, v1, v30
	v_cndmask_b32_e64 v3, 0, 1, vcc_lo
	v_cmp_gt_i32_e32 vcc_lo, v1, v29
	v_add_co_ci_u32_e64 v2, null, v2, v4, vcc_lo
	s_waitcnt lgkmcnt(1)
	v_cmp_gt_i32_e32 vcc_lo, v1, v32
	v_cndmask_b32_e64 v4, 0, 1, vcc_lo
	v_cmp_gt_i32_e32 vcc_lo, v1, v31
	v_add_co_ci_u32_e64 v2, null, v2, v3, vcc_lo
	v_cmp_gt_i32_e32 vcc_lo, v1, v34
	v_cndmask_b32_e64 v3, 0, 1, vcc_lo
	v_cmp_gt_i32_e32 vcc_lo, v1, v33
	v_add_co_ci_u32_e64 v2, null, v2, v4, vcc_lo
	s_waitcnt lgkmcnt(0)
	v_cmp_gt_i32_e32 vcc_lo, v1, v36
	v_cndmask_b32_e64 v4, 0, 1, vcc_lo
	v_cmp_gt_i32_e32 vcc_lo, v1, v35
	v_add_co_ci_u32_e64 v2, null, v2, v3, vcc_lo
	v_cmp_gt_i32_e32 vcc_lo, v1, v38
	v_cndmask_b32_e64 v3, 0, 1, vcc_lo
	v_cmp_gt_i32_e32 vcc_lo, v1, v37
	v_add_co_ci_u32_e64 v2, null, v2, v4, vcc_lo
	v_cmp_gt_i32_e32 vcc_lo, v1, v39
	v_add_nc_u32_e32 v4, s2, v1
	v_add_co_ci_u32_e64 v2, null, v2, v3, vcc_lo
	v_ashrrev_i32_e32 v3, 31, v2
	v_lshlrev_b64 v[2:3], 2, v[2:3]
	v_add_co_u32 v1, vcc_lo, s28, v2
	v_add_co_ci_u32_e64 v2, null, s29, v3, vcc_lo
	global_store_dword v[1:2], v4, off
	s_branch .LBB5_35
.LBB5_38:
	s_endpgm
	.section	.rodata,"a",@progbits
	.p2align	6, 0x0
	.amdhsa_kernel _ZN9rocsparseL32csrgemm_symbolic_fill_wf_per_rowILj256ELj16ELj32ELj137EiiEEvT4_S1_PKS1_S3_PKT3_S3_S6_S3_S6_S3_S6_PS1_21rocsparse_index_base_S8_S8_S8_bb
		.amdhsa_group_segment_fixed_size 2048
		.amdhsa_private_segment_fixed_size 0
		.amdhsa_kernarg_size 108
		.amdhsa_user_sgpr_count 6
		.amdhsa_user_sgpr_private_segment_buffer 1
		.amdhsa_user_sgpr_dispatch_ptr 0
		.amdhsa_user_sgpr_queue_ptr 0
		.amdhsa_user_sgpr_kernarg_segment_ptr 1
		.amdhsa_user_sgpr_dispatch_id 0
		.amdhsa_user_sgpr_flat_scratch_init 0
		.amdhsa_user_sgpr_private_segment_size 0
		.amdhsa_wavefront_size32 1
		.amdhsa_uses_dynamic_stack 0
		.amdhsa_system_sgpr_private_segment_wavefront_offset 0
		.amdhsa_system_sgpr_workgroup_id_x 1
		.amdhsa_system_sgpr_workgroup_id_y 0
		.amdhsa_system_sgpr_workgroup_id_z 0
		.amdhsa_system_sgpr_workgroup_info 0
		.amdhsa_system_vgpr_workitem_id 0
		.amdhsa_next_free_vgpr 40
		.amdhsa_next_free_sgpr 30
		.amdhsa_reserve_vcc 1
		.amdhsa_reserve_flat_scratch 0
		.amdhsa_float_round_mode_32 0
		.amdhsa_float_round_mode_16_64 0
		.amdhsa_float_denorm_mode_32 3
		.amdhsa_float_denorm_mode_16_64 3
		.amdhsa_dx10_clamp 1
		.amdhsa_ieee_mode 1
		.amdhsa_fp16_overflow 0
		.amdhsa_workgroup_processor_mode 1
		.amdhsa_memory_ordered 1
		.amdhsa_forward_progress 1
		.amdhsa_shared_vgpr_count 0
		.amdhsa_exception_fp_ieee_invalid_op 0
		.amdhsa_exception_fp_denorm_src 0
		.amdhsa_exception_fp_ieee_div_zero 0
		.amdhsa_exception_fp_ieee_overflow 0
		.amdhsa_exception_fp_ieee_underflow 0
		.amdhsa_exception_fp_ieee_inexact 0
		.amdhsa_exception_int_div_zero 0
	.end_amdhsa_kernel
	.section	.text._ZN9rocsparseL32csrgemm_symbolic_fill_wf_per_rowILj256ELj16ELj32ELj137EiiEEvT4_S1_PKS1_S3_PKT3_S3_S6_S3_S6_S3_S6_PS1_21rocsparse_index_base_S8_S8_S8_bb,"axG",@progbits,_ZN9rocsparseL32csrgemm_symbolic_fill_wf_per_rowILj256ELj16ELj32ELj137EiiEEvT4_S1_PKS1_S3_PKT3_S3_S6_S3_S6_S3_S6_PS1_21rocsparse_index_base_S8_S8_S8_bb,comdat
.Lfunc_end5:
	.size	_ZN9rocsparseL32csrgemm_symbolic_fill_wf_per_rowILj256ELj16ELj32ELj137EiiEEvT4_S1_PKS1_S3_PKT3_S3_S6_S3_S6_S3_S6_PS1_21rocsparse_index_base_S8_S8_S8_bb, .Lfunc_end5-_ZN9rocsparseL32csrgemm_symbolic_fill_wf_per_rowILj256ELj16ELj32ELj137EiiEEvT4_S1_PKS1_S3_PKT3_S3_S6_S3_S6_S3_S6_PS1_21rocsparse_index_base_S8_S8_S8_bb
                                        ; -- End function
	.set _ZN9rocsparseL32csrgemm_symbolic_fill_wf_per_rowILj256ELj16ELj32ELj137EiiEEvT4_S1_PKS1_S3_PKT3_S3_S6_S3_S6_S3_S6_PS1_21rocsparse_index_base_S8_S8_S8_bb.num_vgpr, 40
	.set _ZN9rocsparseL32csrgemm_symbolic_fill_wf_per_rowILj256ELj16ELj32ELj137EiiEEvT4_S1_PKS1_S3_PKT3_S3_S6_S3_S6_S3_S6_PS1_21rocsparse_index_base_S8_S8_S8_bb.num_agpr, 0
	.set _ZN9rocsparseL32csrgemm_symbolic_fill_wf_per_rowILj256ELj16ELj32ELj137EiiEEvT4_S1_PKS1_S3_PKT3_S3_S6_S3_S6_S3_S6_PS1_21rocsparse_index_base_S8_S8_S8_bb.numbered_sgpr, 30
	.set _ZN9rocsparseL32csrgemm_symbolic_fill_wf_per_rowILj256ELj16ELj32ELj137EiiEEvT4_S1_PKS1_S3_PKT3_S3_S6_S3_S6_S3_S6_PS1_21rocsparse_index_base_S8_S8_S8_bb.num_named_barrier, 0
	.set _ZN9rocsparseL32csrgemm_symbolic_fill_wf_per_rowILj256ELj16ELj32ELj137EiiEEvT4_S1_PKS1_S3_PKT3_S3_S6_S3_S6_S3_S6_PS1_21rocsparse_index_base_S8_S8_S8_bb.private_seg_size, 0
	.set _ZN9rocsparseL32csrgemm_symbolic_fill_wf_per_rowILj256ELj16ELj32ELj137EiiEEvT4_S1_PKS1_S3_PKT3_S3_S6_S3_S6_S3_S6_PS1_21rocsparse_index_base_S8_S8_S8_bb.uses_vcc, 1
	.set _ZN9rocsparseL32csrgemm_symbolic_fill_wf_per_rowILj256ELj16ELj32ELj137EiiEEvT4_S1_PKS1_S3_PKT3_S3_S6_S3_S6_S3_S6_PS1_21rocsparse_index_base_S8_S8_S8_bb.uses_flat_scratch, 0
	.set _ZN9rocsparseL32csrgemm_symbolic_fill_wf_per_rowILj256ELj16ELj32ELj137EiiEEvT4_S1_PKS1_S3_PKT3_S3_S6_S3_S6_S3_S6_PS1_21rocsparse_index_base_S8_S8_S8_bb.has_dyn_sized_stack, 0
	.set _ZN9rocsparseL32csrgemm_symbolic_fill_wf_per_rowILj256ELj16ELj32ELj137EiiEEvT4_S1_PKS1_S3_PKT3_S3_S6_S3_S6_S3_S6_PS1_21rocsparse_index_base_S8_S8_S8_bb.has_recursion, 0
	.set _ZN9rocsparseL32csrgemm_symbolic_fill_wf_per_rowILj256ELj16ELj32ELj137EiiEEvT4_S1_PKS1_S3_PKT3_S3_S6_S3_S6_S3_S6_PS1_21rocsparse_index_base_S8_S8_S8_bb.has_indirect_call, 0
	.section	.AMDGPU.csdata,"",@progbits
; Kernel info:
; codeLenInByte = 1752
; TotalNumSgprs: 32
; NumVgprs: 40
; ScratchSize: 0
; MemoryBound: 0
; FloatMode: 240
; IeeeMode: 1
; LDSByteSize: 2048 bytes/workgroup (compile time only)
; SGPRBlocks: 0
; VGPRBlocks: 4
; NumSGPRsForWavesPerEU: 32
; NumVGPRsForWavesPerEU: 40
; Occupancy: 16
; WaveLimiterHint : 1
; COMPUTE_PGM_RSRC2:SCRATCH_EN: 0
; COMPUTE_PGM_RSRC2:USER_SGPR: 6
; COMPUTE_PGM_RSRC2:TRAP_HANDLER: 0
; COMPUTE_PGM_RSRC2:TGID_X_EN: 1
; COMPUTE_PGM_RSRC2:TGID_Y_EN: 0
; COMPUTE_PGM_RSRC2:TGID_Z_EN: 0
; COMPUTE_PGM_RSRC2:TIDIG_COMP_CNT: 0
	.section	.text._ZN9rocsparseL35csrgemm_symbolic_fill_block_per_rowILj128ELj16ELj256ELj137ELj32EiiEEvT5_PKS1_S3_PKT4_S3_S6_S3_S6_S3_S6_PS1_21rocsparse_index_base_S8_S8_S8_bb,"axG",@progbits,_ZN9rocsparseL35csrgemm_symbolic_fill_block_per_rowILj128ELj16ELj256ELj137ELj32EiiEEvT5_PKS1_S3_PKT4_S3_S6_S3_S6_S3_S6_PS1_21rocsparse_index_base_S8_S8_S8_bb,comdat
	.globl	_ZN9rocsparseL35csrgemm_symbolic_fill_block_per_rowILj128ELj16ELj256ELj137ELj32EiiEEvT5_PKS1_S3_PKT4_S3_S6_S3_S6_S3_S6_PS1_21rocsparse_index_base_S8_S8_S8_bb ; -- Begin function _ZN9rocsparseL35csrgemm_symbolic_fill_block_per_rowILj128ELj16ELj256ELj137ELj32EiiEEvT5_PKS1_S3_PKT4_S3_S6_S3_S6_S3_S6_PS1_21rocsparse_index_base_S8_S8_S8_bb
	.p2align	8
	.type	_ZN9rocsparseL35csrgemm_symbolic_fill_block_per_rowILj128ELj16ELj256ELj137ELj32EiiEEvT5_PKS1_S3_PKT4_S3_S6_S3_S6_S3_S6_PS1_21rocsparse_index_base_S8_S8_S8_bb,@function
_ZN9rocsparseL35csrgemm_symbolic_fill_block_per_rowILj128ELj16ELj256ELj137ELj32EiiEEvT5_PKS1_S3_PKT4_S3_S6_S3_S6_S3_S6_PS1_21rocsparse_index_base_S8_S8_S8_bb: ; @_ZN9rocsparseL35csrgemm_symbolic_fill_block_per_rowILj128ELj16ELj256ELj137ELj32EiiEEvT5_PKS1_S3_PKT4_S3_S6_S3_S6_S3_S6_PS1_21rocsparse_index_base_S8_S8_S8_bb
; %bb.0:
	s_clause 0x3
	s_load_dwordx4 s[24:27], s[4:5], 0x48
	s_load_dwordx8 s[8:15], s[4:5], 0x28
	s_load_dword s28, s[4:5], 0x0
	s_load_dwordx8 s[16:23], s[4:5], 0x8
	v_cmp_gt_u32_e64 s0, 0x100, v0
	v_or_b32_e32 v4, 0xffffff80, v0
	v_lshl_add_u32 v5, v0, 2, 0
	s_and_saveexec_b32 s1, s0
	s_cbranch_execz .LBB6_3
; %bb.1:
	v_or_b32_e32 v1, 0xffffff80, v0
	v_lshl_add_u32 v2, v0, 2, 0
	s_waitcnt lgkmcnt(0)
	v_mov_b32_e32 v3, s28
	s_mov_b32 s2, 0
.LBB6_2:                                ; =>This Inner Loop Header: Depth=1
	v_add_co_u32 v1, s3, 0x80, v1
	s_xor_b32 s3, s3, -1
	ds_write_b32 v2, v3
	v_add_nc_u32_e32 v2, 0x200, v2
	s_and_b32 s3, exec_lo, s3
	s_or_b32 s2, s3, s2
	s_andn2_b32 exec_lo, exec_lo, s2
	s_cbranch_execnz .LBB6_2
.LBB6_3:
	s_or_b32 exec_lo, exec_lo, s1
	s_load_dword s1, s[4:5], 0x68
	s_waitcnt lgkmcnt(0)
	s_barrier
	buffer_gl0_inv
	s_load_dword s2, s[16:17], 0x0
	s_mov_b32 s3, 0
	s_bitcmp1_b32 s1, 0
	s_cselect_b32 s17, -1, 0
	s_waitcnt lgkmcnt(0)
	s_add_i32 s2, s2, s6
	s_lshl_b64 s[2:3], s[2:3], 2
	s_add_u32 s2, s18, s2
	s_addc_u32 s3, s19, s3
	s_load_dwordx4 s[4:7], s[4:5], 0x58
	s_load_dword s16, s[2:3], 0x0
	s_and_b32 vcc_lo, exec_lo, s17
	s_cbranch_vccz .LBB6_19
; %bb.4:
	s_waitcnt lgkmcnt(0)
	s_ashr_i32 s17, s16, 31
	v_lshrrev_b32_e32 v1, 4, v0
	s_lshl_b64 s[2:3], s[16:17], 2
	s_add_u32 s2, s20, s2
	s_addc_u32 s3, s21, s3
	v_subrev_nc_u32_e32 v1, s4, v1
	s_load_dwordx2 s[2:3], s[2:3], 0x0
	s_waitcnt lgkmcnt(0)
	v_add_nc_u32_e32 v1, s2, v1
	s_sub_i32 s2, s3, s4
	s_mov_b32 s3, exec_lo
	v_cmpx_gt_i32_e64 s2, v1
	s_cbranch_execz .LBB6_18
; %bb.5:
	v_and_b32_e32 v2, 15, v0
	s_mov_b32 s17, 0
	v_subrev_nc_u32_e32 v6, s5, v2
	s_branch .LBB6_7
.LBB6_6:                                ;   in Loop: Header=BB6_7 Depth=1
	s_or_b32 exec_lo, exec_lo, s18
	v_add_nc_u32_e32 v1, 8, v1
	v_cmp_le_i32_e32 vcc_lo, s2, v1
	s_or_b32 s17, vcc_lo, s17
	s_andn2_b32 exec_lo, exec_lo, s17
	s_cbranch_execz .LBB6_18
.LBB6_7:                                ; =>This Loop Header: Depth=1
                                        ;     Child Loop BB6_10 Depth 2
                                        ;       Child Loop BB6_13 Depth 3
	v_ashrrev_i32_e32 v2, 31, v1
	s_mov_b32 s18, exec_lo
	v_lshlrev_b64 v[2:3], 2, v[1:2]
	v_add_co_u32 v2, vcc_lo, s22, v2
	v_add_co_ci_u32_e64 v3, null, s23, v3, vcc_lo
	global_load_dword v2, v[2:3], off
	s_waitcnt vmcnt(0)
	v_subrev_nc_u32_e32 v2, s4, v2
	v_ashrrev_i32_e32 v3, 31, v2
	v_lshlrev_b64 v[2:3], 2, v[2:3]
	v_add_co_u32 v2, vcc_lo, s8, v2
	v_add_co_ci_u32_e64 v3, null, s9, v3, vcc_lo
	global_load_dwordx2 v[2:3], v[2:3], off
	s_waitcnt vmcnt(0)
	v_subrev_nc_u32_e32 v7, s5, v3
	v_add_nc_u32_e32 v2, v2, v6
	v_cmpx_lt_i32_e64 v2, v7
	s_cbranch_execz .LBB6_6
; %bb.8:                                ;   in Loop: Header=BB6_7 Depth=1
	s_mov_b32 s19, 0
	s_branch .LBB6_10
.LBB6_9:                                ;   in Loop: Header=BB6_10 Depth=2
	s_inst_prefetch 0x2
	s_or_b32 exec_lo, exec_lo, s20
	v_add_nc_u32_e32 v2, 16, v2
	v_cmp_ge_i32_e32 vcc_lo, v2, v7
	s_or_b32 s19, vcc_lo, s19
	s_andn2_b32 exec_lo, exec_lo, s19
	s_cbranch_execz .LBB6_6
.LBB6_10:                               ;   Parent Loop BB6_7 Depth=1
                                        ; =>  This Loop Header: Depth=2
                                        ;       Child Loop BB6_13 Depth 3
	v_ashrrev_i32_e32 v3, 31, v2
	s_mov_b32 s20, 0
                                        ; implicit-def: $sgpr21
	v_lshlrev_b64 v[8:9], 2, v[2:3]
	v_add_co_u32 v8, vcc_lo, s10, v8
	v_add_co_ci_u32_e64 v9, null, s11, v9, vcc_lo
	global_load_dword v3, v[8:9], off
	s_waitcnt vmcnt(0)
	v_subrev_nc_u32_e32 v3, s5, v3
	v_mul_lo_u32 v8, 0x89, v3
	v_and_b32_e32 v8, 0xff, v8
	s_inst_prefetch 0x1
	s_branch .LBB6_13
	.p2align	6
.LBB6_11:                               ;   in Loop: Header=BB6_13 Depth=3
	s_or_b32 exec_lo, exec_lo, s30
	s_andn2_b32 s21, s21, exec_lo
	s_and_b32 s30, s31, exec_lo
	s_or_b32 s21, s21, s30
.LBB6_12:                               ;   in Loop: Header=BB6_13 Depth=3
	s_or_b32 exec_lo, exec_lo, s29
	s_xor_b32 s29, s21, -1
	s_and_b32 s29, exec_lo, s29
	s_or_b32 s20, s29, s20
	s_andn2_b32 exec_lo, exec_lo, s20
	s_cbranch_execz .LBB6_9
.LBB6_13:                               ;   Parent Loop BB6_7 Depth=1
                                        ;     Parent Loop BB6_10 Depth=2
                                        ; =>    This Inner Loop Header: Depth=3
	v_lshl_add_u32 v9, v8, 2, 0
	s_andn2_b32 s21, s21, exec_lo
	s_mov_b32 s29, exec_lo
	ds_read_b32 v10, v9
	s_waitcnt lgkmcnt(0)
	v_cmpx_ne_u32_e64 v10, v3
	s_cbranch_execz .LBB6_12
; %bb.14:                               ;   in Loop: Header=BB6_13 Depth=3
	s_mov_b32 s30, exec_lo
	v_cmpx_ne_u32_e64 s28, v10
	s_xor_b32 s30, exec_lo, s30
; %bb.15:                               ;   in Loop: Header=BB6_13 Depth=3
	v_add_nc_u32_e32 v8, 1, v8
                                        ; implicit-def: $vgpr9
	v_and_b32_e32 v8, 0xff, v8
; %bb.16:                               ;   in Loop: Header=BB6_13 Depth=3
	s_or_saveexec_b32 s30, s30
	s_mov_b32 s31, -1
	s_xor_b32 exec_lo, exec_lo, s30
	s_cbranch_execz .LBB6_11
; %bb.17:                               ;   in Loop: Header=BB6_13 Depth=3
	v_mov_b32_e32 v10, s28
	ds_cmpst_rtn_b32 v9, v9, v10, v3
	s_waitcnt lgkmcnt(0)
	v_cmp_ne_u32_e32 vcc_lo, s28, v9
	s_orn2_b32 s31, vcc_lo, exec_lo
	s_branch .LBB6_11
.LBB6_18:
	s_or_b32 exec_lo, exec_lo, s3
.LBB6_19:
	s_bfe_u32 s1, s1, 0x10008
	s_cmp_eq_u32 s1, 0
	s_cbranch_scc1 .LBB6_32
; %bb.20:
	s_waitcnt lgkmcnt(0)
	s_ashr_i32 s17, s16, 31
	v_subrev_nc_u32_e32 v1, s7, v0
	s_lshl_b64 s[2:3], s[16:17], 2
	s_add_u32 s2, s12, s2
	s_addc_u32 s3, s13, s3
	s_load_dwordx2 s[2:3], s[2:3], 0x0
	s_waitcnt lgkmcnt(0)
	v_add_nc_u32_e32 v1, s2, v1
	s_sub_i32 s1, s3, s7
	s_mov_b32 s2, exec_lo
	v_cmpx_gt_i32_e64 s1, v1
	s_cbranch_execz .LBB6_31
; %bb.21:
	s_mov_b32 s3, 0
	s_branch .LBB6_23
.LBB6_22:                               ;   in Loop: Header=BB6_23 Depth=1
	s_inst_prefetch 0x2
	s_or_b32 exec_lo, exec_lo, s4
	v_add_nc_u32_e32 v1, 0x80, v1
	v_cmp_le_i32_e32 vcc_lo, s1, v1
	s_or_b32 s3, vcc_lo, s3
	s_andn2_b32 exec_lo, exec_lo, s3
	s_cbranch_execz .LBB6_31
.LBB6_23:                               ; =>This Loop Header: Depth=1
                                        ;     Child Loop BB6_26 Depth 2
	v_ashrrev_i32_e32 v2, 31, v1
	s_mov_b32 s4, 0
                                        ; implicit-def: $sgpr5
	v_lshlrev_b64 v[2:3], 2, v[1:2]
	v_add_co_u32 v2, vcc_lo, s14, v2
	v_add_co_ci_u32_e64 v3, null, s15, v3, vcc_lo
	global_load_dword v2, v[2:3], off
	s_waitcnt vmcnt(0)
	v_subrev_nc_u32_e32 v2, s7, v2
	v_mul_lo_u32 v3, 0x89, v2
	v_and_b32_e32 v3, 0xff, v3
	s_inst_prefetch 0x1
	s_branch .LBB6_26
	.p2align	6
.LBB6_24:                               ;   in Loop: Header=BB6_26 Depth=2
	s_or_b32 exec_lo, exec_lo, s9
	s_andn2_b32 s5, s5, exec_lo
	s_and_b32 s9, s10, exec_lo
	s_or_b32 s5, s5, s9
.LBB6_25:                               ;   in Loop: Header=BB6_26 Depth=2
	s_or_b32 exec_lo, exec_lo, s8
	s_xor_b32 s8, s5, -1
	s_and_b32 s8, exec_lo, s8
	s_or_b32 s4, s8, s4
	s_andn2_b32 exec_lo, exec_lo, s4
	s_cbranch_execz .LBB6_22
.LBB6_26:                               ;   Parent Loop BB6_23 Depth=1
                                        ; =>  This Inner Loop Header: Depth=2
	v_lshl_add_u32 v6, v3, 2, 0
	s_andn2_b32 s5, s5, exec_lo
	s_mov_b32 s8, exec_lo
	ds_read_b32 v7, v6
	s_waitcnt lgkmcnt(0)
	v_cmpx_ne_u32_e64 v7, v2
	s_cbranch_execz .LBB6_25
; %bb.27:                               ;   in Loop: Header=BB6_26 Depth=2
	s_mov_b32 s9, exec_lo
	v_cmpx_ne_u32_e64 s28, v7
	s_xor_b32 s9, exec_lo, s9
; %bb.28:                               ;   in Loop: Header=BB6_26 Depth=2
	v_add_nc_u32_e32 v3, 1, v3
                                        ; implicit-def: $vgpr6
	v_and_b32_e32 v3, 0xff, v3
; %bb.29:                               ;   in Loop: Header=BB6_26 Depth=2
	s_or_saveexec_b32 s9, s9
	s_mov_b32 s10, -1
	s_xor_b32 exec_lo, exec_lo, s9
	s_cbranch_execz .LBB6_24
; %bb.30:                               ;   in Loop: Header=BB6_26 Depth=2
	v_mov_b32_e32 v7, s28
	ds_cmpst_rtn_b32 v6, v6, v7, v2
	s_waitcnt lgkmcnt(0)
	v_cmp_ne_u32_e32 vcc_lo, s28, v6
	s_orn2_b32 s10, vcc_lo, exec_lo
	s_branch .LBB6_24
.LBB6_31:
	s_or_b32 exec_lo, exec_lo, s2
.LBB6_32:
	s_waitcnt lgkmcnt(0)
	s_barrier
	buffer_gl0_inv
	s_and_saveexec_b32 s4, s0
	s_cbranch_execz .LBB6_45
; %bb.33:
	v_mbcnt_lo_u32_b32 v2, -1, 0
	v_lshrrev_b32_e32 v3, 3, v0
	v_mov_b32_e32 v1, 0
	v_cmp_lt_u32_e64 s0, 31, v0
	v_cmp_lt_u32_e64 s1, 63, v0
	v_xor_b32_e32 v2, 31, v2
	v_and_b32_e32 v3, 12, v3
	v_cmp_lt_u32_e64 s2, 0x5f, v0
	v_mov_b32_e32 v6, 0
	s_mov_b32 s5, 0
	v_lshrrev_b32_e64 v2, v2, -1
	v_add_nc_u32_e32 v3, 0, v3
	v_cmp_eq_u32_e32 vcc_lo, 0x7f, v0
	s_branch .LBB6_35
.LBB6_34:                               ;   in Loop: Header=BB6_35 Depth=1
	s_or_b32 exec_lo, exec_lo, s3
	s_waitcnt lgkmcnt(0)
	s_barrier
	buffer_gl0_inv
	ds_read_b32 v7, v1 offset:1036
	v_add_co_u32 v4, s3, 0x80, v4
	s_xor_b32 s3, s3, -1
	v_add_nc_u32_e32 v5, 0x200, v5
	s_and_b32 s3, exec_lo, s3
	s_or_b32 s5, s3, s5
	s_waitcnt lgkmcnt(0)
	v_add_nc_u32_e32 v6, v7, v6
	s_andn2_b32 exec_lo, exec_lo, s5
	s_cbranch_execz .LBB6_45
.LBB6_35:                               ; =>This Inner Loop Header: Depth=1
	ds_read_b32 v7, v5
	s_waitcnt lgkmcnt(0)
	s_barrier
	buffer_gl0_inv
	v_cmp_gt_i32_e64 s3, s28, v7
	v_and_b32_e32 v8, s3, v2
	s_bcnt1_i32_b32 s7, s3
	v_mov_b32_e32 v9, s7
	v_bcnt_u32_b32 v8, v8, 0
	ds_write_b32 v3, v9 offset:1024
	s_waitcnt lgkmcnt(0)
	s_barrier
	buffer_gl0_inv
	s_and_saveexec_b32 s7, s0
	s_cbranch_execnz .LBB6_40
; %bb.36:                               ;   in Loop: Header=BB6_35 Depth=1
	s_or_b32 exec_lo, exec_lo, s7
	s_and_saveexec_b32 s7, s1
	s_cbranch_execnz .LBB6_41
.LBB6_37:                               ;   in Loop: Header=BB6_35 Depth=1
	s_or_b32 exec_lo, exec_lo, s7
	s_and_saveexec_b32 s7, s2
	s_cbranch_execnz .LBB6_42
.LBB6_38:                               ;   in Loop: Header=BB6_35 Depth=1
	s_or_b32 exec_lo, exec_lo, s7
	s_and_saveexec_b32 s7, s3
	s_cbranch_execnz .LBB6_43
.LBB6_39:                               ;   in Loop: Header=BB6_35 Depth=1
	s_or_b32 exec_lo, exec_lo, s7
	s_and_saveexec_b32 s3, vcc_lo
	s_cbranch_execz .LBB6_34
	s_branch .LBB6_44
.LBB6_40:                               ;   in Loop: Header=BB6_35 Depth=1
	ds_read_b32 v9, v1 offset:1024
	s_waitcnt lgkmcnt(0)
	v_add_nc_u32_e32 v8, v9, v8
	s_or_b32 exec_lo, exec_lo, s7
	s_and_saveexec_b32 s7, s1
	s_cbranch_execz .LBB6_37
.LBB6_41:                               ;   in Loop: Header=BB6_35 Depth=1
	ds_read_b32 v9, v1 offset:1028
	s_waitcnt lgkmcnt(0)
	v_add_nc_u32_e32 v8, v9, v8
	s_or_b32 exec_lo, exec_lo, s7
	s_and_saveexec_b32 s7, s2
	s_cbranch_execz .LBB6_38
.LBB6_42:                               ;   in Loop: Header=BB6_35 Depth=1
	ds_read_b32 v9, v1 offset:1032
	s_waitcnt lgkmcnt(0)
	v_add_nc_u32_e32 v8, v9, v8
	s_or_b32 exec_lo, exec_lo, s7
	s_and_saveexec_b32 s7, s3
	s_cbranch_execz .LBB6_39
.LBB6_43:                               ;   in Loop: Header=BB6_35 Depth=1
	v_lshlrev_b32_e32 v9, 2, v6
	v_lshlrev_b32_e32 v10, 2, v8
	v_add_nc_u32_e32 v9, 0, v9
	v_add3_u32 v9, v9, v10, -4
	ds_write_b32 v9, v7
	s_or_b32 exec_lo, exec_lo, s7
	s_and_saveexec_b32 s3, vcc_lo
	s_cbranch_execz .LBB6_34
.LBB6_44:                               ;   in Loop: Header=BB6_35 Depth=1
	ds_write_b32 v1, v8 offset:1036
	s_branch .LBB6_34
.LBB6_45:
	s_or_b32 exec_lo, exec_lo, s4
	s_ashr_i32 s17, s16, 31
	s_mov_b32 s3, exec_lo
	s_lshl_b64 s[0:1], s[16:17], 2
	s_add_u32 s0, s24, s0
	s_addc_u32 s1, s25, s1
	s_load_dwordx2 s[0:1], s[0:1], 0x0
	s_waitcnt lgkmcnt(0)
	s_sub_i32 s2, s1, s0
	v_cmpx_gt_i32_e64 s2, v0
	s_cbranch_execz .LBB6_55
; %bb.46:
	s_sub_i32 s3, s0, s6
	s_sub_i32 s0, s0, s1
	s_and_b32 s1, s2, 7
	s_cmp_lt_u32 s0, -7
	s_mov_b32 s8, 0
	s_cselect_b32 s4, -1, 0
	s_and_b32 s5, s2, -8
	s_cmp_lg_u32 s1, 0
	s_cselect_b32 s7, -1, 0
	s_branch .LBB6_48
.LBB6_47:                               ;   in Loop: Header=BB6_48 Depth=1
	v_ashrrev_i32_e32 v2, 31, v1
	v_add_nc_u32_e32 v0, 0x80, v0
	s_waitcnt lgkmcnt(0)
	v_add_nc_u32_e32 v3, s6, v3
	v_lshlrev_b64 v[1:2], 2, v[1:2]
	v_cmp_le_i32_e32 vcc_lo, s2, v0
	s_or_b32 s8, vcc_lo, s8
	v_add_co_u32 v1, s0, s26, v1
	v_add_co_ci_u32_e64 v2, null, s27, v2, s0
	global_store_dword v[1:2], v3, off
	s_andn2_b32 exec_lo, exec_lo, s8
	s_cbranch_execz .LBB6_55
.LBB6_48:                               ; =>This Loop Header: Depth=1
                                        ;     Child Loop BB6_50 Depth 2
                                        ;     Child Loop BB6_54 Depth 2
	v_lshl_add_u32 v1, v0, 2, 0
	s_andn2_b32 vcc_lo, exec_lo, s4
	s_mov_b32 s0, 0
	ds_read_b32 v3, v1
	v_mov_b32_e32 v1, s3
	s_cbranch_vccnz .LBB6_52
; %bb.49:                               ;   in Loop: Header=BB6_48 Depth=1
	v_mov_b32_e32 v1, s3
	s_mov_b32 s9, 0
	s_inst_prefetch 0x1
	.p2align	6
.LBB6_50:                               ;   Parent Loop BB6_48 Depth=1
                                        ; =>  This Inner Loop Header: Depth=2
	v_mov_b32_e32 v2, s9
	s_add_i32 s0, s0, 8
	s_add_i32 s9, s9, 32
	s_cmp_eq_u32 s5, s0
	ds_read2_b32 v[4:5], v2 offset1:1
	ds_read2_b32 v[6:7], v2 offset0:2 offset1:3
	ds_read2_b32 v[8:9], v2 offset0:4 offset1:5
	;; [unrolled: 1-line block ×3, first 2 shown]
	s_waitcnt lgkmcnt(3)
	v_cmp_gt_i32_e32 vcc_lo, v3, v4
	v_cndmask_b32_e64 v2, 0, 1, vcc_lo
	s_waitcnt lgkmcnt(2)
	v_cmp_gt_i32_e32 vcc_lo, v3, v6
	v_cndmask_b32_e64 v4, 0, 1, vcc_lo
	v_cmp_gt_i32_e32 vcc_lo, v3, v5
	v_add_co_ci_u32_e64 v1, null, v1, v2, vcc_lo
	s_waitcnt lgkmcnt(1)
	v_cmp_gt_i32_e32 vcc_lo, v3, v8
	v_cndmask_b32_e64 v2, 0, 1, vcc_lo
	v_cmp_gt_i32_e32 vcc_lo, v3, v7
	v_add_co_ci_u32_e64 v1, null, v1, v4, vcc_lo
	;; [unrolled: 5-line block ×3, first 2 shown]
	v_cmp_gt_i32_e32 vcc_lo, v3, v11
	v_add_co_ci_u32_e64 v1, null, v1, v4, vcc_lo
	s_cbranch_scc0 .LBB6_50
; %bb.51:                               ;   in Loop: Header=BB6_48 Depth=1
	s_inst_prefetch 0x2
	s_mov_b32 s0, s5
.LBB6_52:                               ;   in Loop: Header=BB6_48 Depth=1
	s_andn2_b32 vcc_lo, exec_lo, s7
	s_cbranch_vccnz .LBB6_47
; %bb.53:                               ;   in Loop: Header=BB6_48 Depth=1
	s_lshl_b32 s0, s0, 2
	s_mov_b32 s9, s1
	s_add_i32 s0, s0, 0
.LBB6_54:                               ;   Parent Loop BB6_48 Depth=1
                                        ; =>  This Inner Loop Header: Depth=2
	v_mov_b32_e32 v2, s0
	s_add_i32 s9, s9, -1
	s_add_i32 s0, s0, 4
	s_cmp_lg_u32 s9, 0
	ds_read_b32 v2, v2
	s_waitcnt lgkmcnt(0)
	v_cmp_gt_i32_e32 vcc_lo, v3, v2
	v_add_co_ci_u32_e64 v1, null, 0, v1, vcc_lo
	s_cbranch_scc1 .LBB6_54
	s_branch .LBB6_47
.LBB6_55:
	s_endpgm
	.section	.rodata,"a",@progbits
	.p2align	6, 0x0
	.amdhsa_kernel _ZN9rocsparseL35csrgemm_symbolic_fill_block_per_rowILj128ELj16ELj256ELj137ELj32EiiEEvT5_PKS1_S3_PKT4_S3_S6_S3_S6_S3_S6_PS1_21rocsparse_index_base_S8_S8_S8_bb
		.amdhsa_group_segment_fixed_size 0
		.amdhsa_private_segment_fixed_size 0
		.amdhsa_kernarg_size 108
		.amdhsa_user_sgpr_count 6
		.amdhsa_user_sgpr_private_segment_buffer 1
		.amdhsa_user_sgpr_dispatch_ptr 0
		.amdhsa_user_sgpr_queue_ptr 0
		.amdhsa_user_sgpr_kernarg_segment_ptr 1
		.amdhsa_user_sgpr_dispatch_id 0
		.amdhsa_user_sgpr_flat_scratch_init 0
		.amdhsa_user_sgpr_private_segment_size 0
		.amdhsa_wavefront_size32 1
		.amdhsa_uses_dynamic_stack 0
		.amdhsa_system_sgpr_private_segment_wavefront_offset 0
		.amdhsa_system_sgpr_workgroup_id_x 1
		.amdhsa_system_sgpr_workgroup_id_y 0
		.amdhsa_system_sgpr_workgroup_id_z 0
		.amdhsa_system_sgpr_workgroup_info 0
		.amdhsa_system_vgpr_workitem_id 0
		.amdhsa_next_free_vgpr 12
		.amdhsa_next_free_sgpr 32
		.amdhsa_reserve_vcc 1
		.amdhsa_reserve_flat_scratch 0
		.amdhsa_float_round_mode_32 0
		.amdhsa_float_round_mode_16_64 0
		.amdhsa_float_denorm_mode_32 3
		.amdhsa_float_denorm_mode_16_64 3
		.amdhsa_dx10_clamp 1
		.amdhsa_ieee_mode 1
		.amdhsa_fp16_overflow 0
		.amdhsa_workgroup_processor_mode 1
		.amdhsa_memory_ordered 1
		.amdhsa_forward_progress 1
		.amdhsa_shared_vgpr_count 0
		.amdhsa_exception_fp_ieee_invalid_op 0
		.amdhsa_exception_fp_denorm_src 0
		.amdhsa_exception_fp_ieee_div_zero 0
		.amdhsa_exception_fp_ieee_overflow 0
		.amdhsa_exception_fp_ieee_underflow 0
		.amdhsa_exception_fp_ieee_inexact 0
		.amdhsa_exception_int_div_zero 0
	.end_amdhsa_kernel
	.section	.text._ZN9rocsparseL35csrgemm_symbolic_fill_block_per_rowILj128ELj16ELj256ELj137ELj32EiiEEvT5_PKS1_S3_PKT4_S3_S6_S3_S6_S3_S6_PS1_21rocsparse_index_base_S8_S8_S8_bb,"axG",@progbits,_ZN9rocsparseL35csrgemm_symbolic_fill_block_per_rowILj128ELj16ELj256ELj137ELj32EiiEEvT5_PKS1_S3_PKT4_S3_S6_S3_S6_S3_S6_PS1_21rocsparse_index_base_S8_S8_S8_bb,comdat
.Lfunc_end6:
	.size	_ZN9rocsparseL35csrgemm_symbolic_fill_block_per_rowILj128ELj16ELj256ELj137ELj32EiiEEvT5_PKS1_S3_PKT4_S3_S6_S3_S6_S3_S6_PS1_21rocsparse_index_base_S8_S8_S8_bb, .Lfunc_end6-_ZN9rocsparseL35csrgemm_symbolic_fill_block_per_rowILj128ELj16ELj256ELj137ELj32EiiEEvT5_PKS1_S3_PKT4_S3_S6_S3_S6_S3_S6_PS1_21rocsparse_index_base_S8_S8_S8_bb
                                        ; -- End function
	.set _ZN9rocsparseL35csrgemm_symbolic_fill_block_per_rowILj128ELj16ELj256ELj137ELj32EiiEEvT5_PKS1_S3_PKT4_S3_S6_S3_S6_S3_S6_PS1_21rocsparse_index_base_S8_S8_S8_bb.num_vgpr, 12
	.set _ZN9rocsparseL35csrgemm_symbolic_fill_block_per_rowILj128ELj16ELj256ELj137ELj32EiiEEvT5_PKS1_S3_PKT4_S3_S6_S3_S6_S3_S6_PS1_21rocsparse_index_base_S8_S8_S8_bb.num_agpr, 0
	.set _ZN9rocsparseL35csrgemm_symbolic_fill_block_per_rowILj128ELj16ELj256ELj137ELj32EiiEEvT5_PKS1_S3_PKT4_S3_S6_S3_S6_S3_S6_PS1_21rocsparse_index_base_S8_S8_S8_bb.numbered_sgpr, 32
	.set _ZN9rocsparseL35csrgemm_symbolic_fill_block_per_rowILj128ELj16ELj256ELj137ELj32EiiEEvT5_PKS1_S3_PKT4_S3_S6_S3_S6_S3_S6_PS1_21rocsparse_index_base_S8_S8_S8_bb.num_named_barrier, 0
	.set _ZN9rocsparseL35csrgemm_symbolic_fill_block_per_rowILj128ELj16ELj256ELj137ELj32EiiEEvT5_PKS1_S3_PKT4_S3_S6_S3_S6_S3_S6_PS1_21rocsparse_index_base_S8_S8_S8_bb.private_seg_size, 0
	.set _ZN9rocsparseL35csrgemm_symbolic_fill_block_per_rowILj128ELj16ELj256ELj137ELj32EiiEEvT5_PKS1_S3_PKT4_S3_S6_S3_S6_S3_S6_PS1_21rocsparse_index_base_S8_S8_S8_bb.uses_vcc, 1
	.set _ZN9rocsparseL35csrgemm_symbolic_fill_block_per_rowILj128ELj16ELj256ELj137ELj32EiiEEvT5_PKS1_S3_PKT4_S3_S6_S3_S6_S3_S6_PS1_21rocsparse_index_base_S8_S8_S8_bb.uses_flat_scratch, 0
	.set _ZN9rocsparseL35csrgemm_symbolic_fill_block_per_rowILj128ELj16ELj256ELj137ELj32EiiEEvT5_PKS1_S3_PKT4_S3_S6_S3_S6_S3_S6_PS1_21rocsparse_index_base_S8_S8_S8_bb.has_dyn_sized_stack, 0
	.set _ZN9rocsparseL35csrgemm_symbolic_fill_block_per_rowILj128ELj16ELj256ELj137ELj32EiiEEvT5_PKS1_S3_PKT4_S3_S6_S3_S6_S3_S6_PS1_21rocsparse_index_base_S8_S8_S8_bb.has_recursion, 0
	.set _ZN9rocsparseL35csrgemm_symbolic_fill_block_per_rowILj128ELj16ELj256ELj137ELj32EiiEEvT5_PKS1_S3_PKT4_S3_S6_S3_S6_S3_S6_PS1_21rocsparse_index_base_S8_S8_S8_bb.has_indirect_call, 0
	.section	.AMDGPU.csdata,"",@progbits
; Kernel info:
; codeLenInByte = 2036
; TotalNumSgprs: 34
; NumVgprs: 12
; ScratchSize: 0
; MemoryBound: 0
; FloatMode: 240
; IeeeMode: 1
; LDSByteSize: 0 bytes/workgroup (compile time only)
; SGPRBlocks: 0
; VGPRBlocks: 1
; NumSGPRsForWavesPerEU: 34
; NumVGPRsForWavesPerEU: 12
; Occupancy: 16
; WaveLimiterHint : 1
; COMPUTE_PGM_RSRC2:SCRATCH_EN: 0
; COMPUTE_PGM_RSRC2:USER_SGPR: 6
; COMPUTE_PGM_RSRC2:TRAP_HANDLER: 0
; COMPUTE_PGM_RSRC2:TGID_X_EN: 1
; COMPUTE_PGM_RSRC2:TGID_Y_EN: 0
; COMPUTE_PGM_RSRC2:TGID_Z_EN: 0
; COMPUTE_PGM_RSRC2:TIDIG_COMP_CNT: 0
	.section	.text._ZN9rocsparseL35csrgemm_symbolic_fill_block_per_rowILj128ELj16ELj256ELj137ELj64EiiEEvT5_PKS1_S3_PKT4_S3_S6_S3_S6_S3_S6_PS1_21rocsparse_index_base_S8_S8_S8_bb,"axG",@progbits,_ZN9rocsparseL35csrgemm_symbolic_fill_block_per_rowILj128ELj16ELj256ELj137ELj64EiiEEvT5_PKS1_S3_PKT4_S3_S6_S3_S6_S3_S6_PS1_21rocsparse_index_base_S8_S8_S8_bb,comdat
	.globl	_ZN9rocsparseL35csrgemm_symbolic_fill_block_per_rowILj128ELj16ELj256ELj137ELj64EiiEEvT5_PKS1_S3_PKT4_S3_S6_S3_S6_S3_S6_PS1_21rocsparse_index_base_S8_S8_S8_bb ; -- Begin function _ZN9rocsparseL35csrgemm_symbolic_fill_block_per_rowILj128ELj16ELj256ELj137ELj64EiiEEvT5_PKS1_S3_PKT4_S3_S6_S3_S6_S3_S6_PS1_21rocsparse_index_base_S8_S8_S8_bb
	.p2align	8
	.type	_ZN9rocsparseL35csrgemm_symbolic_fill_block_per_rowILj128ELj16ELj256ELj137ELj64EiiEEvT5_PKS1_S3_PKT4_S3_S6_S3_S6_S3_S6_PS1_21rocsparse_index_base_S8_S8_S8_bb,@function
_ZN9rocsparseL35csrgemm_symbolic_fill_block_per_rowILj128ELj16ELj256ELj137ELj64EiiEEvT5_PKS1_S3_PKT4_S3_S6_S3_S6_S3_S6_PS1_21rocsparse_index_base_S8_S8_S8_bb: ; @_ZN9rocsparseL35csrgemm_symbolic_fill_block_per_rowILj128ELj16ELj256ELj137ELj64EiiEEvT5_PKS1_S3_PKT4_S3_S6_S3_S6_S3_S6_PS1_21rocsparse_index_base_S8_S8_S8_bb
; %bb.0:
	s_clause 0x3
	s_load_dwordx4 s[24:27], s[4:5], 0x48
	s_load_dwordx8 s[8:15], s[4:5], 0x28
	s_load_dword s28, s[4:5], 0x0
	s_load_dwordx8 s[16:23], s[4:5], 0x8
	v_cmp_gt_u32_e64 s0, 0x100, v0
	v_or_b32_e32 v4, 0xffffff80, v0
	v_lshl_add_u32 v5, v0, 2, 0
	s_and_saveexec_b32 s1, s0
	s_cbranch_execz .LBB7_3
; %bb.1:
	v_or_b32_e32 v1, 0xffffff80, v0
	v_lshl_add_u32 v2, v0, 2, 0
	s_waitcnt lgkmcnt(0)
	v_mov_b32_e32 v3, s28
	s_mov_b32 s2, 0
.LBB7_2:                                ; =>This Inner Loop Header: Depth=1
	v_add_co_u32 v1, s3, 0x80, v1
	s_xor_b32 s3, s3, -1
	ds_write_b32 v2, v3
	v_add_nc_u32_e32 v2, 0x200, v2
	s_and_b32 s3, exec_lo, s3
	s_or_b32 s2, s3, s2
	s_andn2_b32 exec_lo, exec_lo, s2
	s_cbranch_execnz .LBB7_2
.LBB7_3:
	s_or_b32 exec_lo, exec_lo, s1
	s_load_dword s1, s[4:5], 0x68
	s_waitcnt lgkmcnt(0)
	s_barrier
	buffer_gl0_inv
	s_load_dword s2, s[16:17], 0x0
	s_mov_b32 s3, 0
	v_lshrrev_b32_e32 v6, 4, v0
	s_bitcmp1_b32 s1, 0
	s_cselect_b32 s16, -1, 0
	s_waitcnt lgkmcnt(0)
	s_add_i32 s2, s2, s6
	s_lshl_b64 s[2:3], s[2:3], 2
	s_add_u32 s2, s18, s2
	s_addc_u32 s3, s19, s3
	s_load_dwordx4 s[4:7], s[4:5], 0x58
	s_load_dword s2, s[2:3], 0x0
	s_and_b32 vcc_lo, exec_lo, s16
	s_cbranch_vccz .LBB7_19
; %bb.4:
	s_waitcnt lgkmcnt(0)
	s_ashr_i32 s3, s2, 31
	v_subrev_nc_u32_e32 v1, s4, v6
	s_lshl_b64 s[16:17], s[2:3], 2
	s_add_u32 s16, s20, s16
	s_addc_u32 s17, s21, s17
	s_load_dwordx2 s[16:17], s[16:17], 0x0
	s_waitcnt lgkmcnt(0)
	v_add_nc_u32_e32 v1, s16, v1
	s_sub_i32 s3, s17, s4
	s_mov_b32 s16, exec_lo
	v_cmpx_gt_i32_e64 s3, v1
	s_cbranch_execz .LBB7_18
; %bb.5:
	v_and_b32_e32 v2, 15, v0
	s_mov_b32 s17, 0
	v_subrev_nc_u32_e32 v7, s5, v2
	s_branch .LBB7_7
.LBB7_6:                                ;   in Loop: Header=BB7_7 Depth=1
	s_or_b32 exec_lo, exec_lo, s18
	v_add_nc_u32_e32 v1, 8, v1
	v_cmp_le_i32_e32 vcc_lo, s3, v1
	s_or_b32 s17, vcc_lo, s17
	s_andn2_b32 exec_lo, exec_lo, s17
	s_cbranch_execz .LBB7_18
.LBB7_7:                                ; =>This Loop Header: Depth=1
                                        ;     Child Loop BB7_10 Depth 2
                                        ;       Child Loop BB7_13 Depth 3
	v_ashrrev_i32_e32 v2, 31, v1
	s_mov_b32 s18, exec_lo
	v_lshlrev_b64 v[2:3], 2, v[1:2]
	v_add_co_u32 v2, vcc_lo, s22, v2
	v_add_co_ci_u32_e64 v3, null, s23, v3, vcc_lo
	global_load_dword v2, v[2:3], off
	s_waitcnt vmcnt(0)
	v_subrev_nc_u32_e32 v2, s4, v2
	v_ashrrev_i32_e32 v3, 31, v2
	v_lshlrev_b64 v[2:3], 2, v[2:3]
	v_add_co_u32 v2, vcc_lo, s8, v2
	v_add_co_ci_u32_e64 v3, null, s9, v3, vcc_lo
	global_load_dwordx2 v[2:3], v[2:3], off
	s_waitcnt vmcnt(0)
	v_subrev_nc_u32_e32 v8, s5, v3
	v_add_nc_u32_e32 v2, v2, v7
	v_cmpx_lt_i32_e64 v2, v8
	s_cbranch_execz .LBB7_6
; %bb.8:                                ;   in Loop: Header=BB7_7 Depth=1
	s_mov_b32 s19, 0
	s_branch .LBB7_10
.LBB7_9:                                ;   in Loop: Header=BB7_10 Depth=2
	s_inst_prefetch 0x2
	s_or_b32 exec_lo, exec_lo, s20
	v_add_nc_u32_e32 v2, 16, v2
	v_cmp_ge_i32_e32 vcc_lo, v2, v8
	s_or_b32 s19, vcc_lo, s19
	s_andn2_b32 exec_lo, exec_lo, s19
	s_cbranch_execz .LBB7_6
.LBB7_10:                               ;   Parent Loop BB7_7 Depth=1
                                        ; =>  This Loop Header: Depth=2
                                        ;       Child Loop BB7_13 Depth 3
	v_ashrrev_i32_e32 v3, 31, v2
	s_mov_b32 s20, 0
                                        ; implicit-def: $sgpr21
	v_lshlrev_b64 v[9:10], 2, v[2:3]
	v_add_co_u32 v9, vcc_lo, s10, v9
	v_add_co_ci_u32_e64 v10, null, s11, v10, vcc_lo
	global_load_dword v3, v[9:10], off
	s_waitcnt vmcnt(0)
	v_subrev_nc_u32_e32 v3, s5, v3
	v_mul_lo_u32 v9, 0x89, v3
	v_and_b32_e32 v9, 0xff, v9
	s_inst_prefetch 0x1
	s_branch .LBB7_13
	.p2align	6
.LBB7_11:                               ;   in Loop: Header=BB7_13 Depth=3
	s_or_b32 exec_lo, exec_lo, s30
	s_andn2_b32 s21, s21, exec_lo
	s_and_b32 s30, s31, exec_lo
	s_or_b32 s21, s21, s30
.LBB7_12:                               ;   in Loop: Header=BB7_13 Depth=3
	s_or_b32 exec_lo, exec_lo, s29
	s_xor_b32 s29, s21, -1
	s_and_b32 s29, exec_lo, s29
	s_or_b32 s20, s29, s20
	s_andn2_b32 exec_lo, exec_lo, s20
	s_cbranch_execz .LBB7_9
.LBB7_13:                               ;   Parent Loop BB7_7 Depth=1
                                        ;     Parent Loop BB7_10 Depth=2
                                        ; =>    This Inner Loop Header: Depth=3
	v_lshl_add_u32 v10, v9, 2, 0
	s_andn2_b32 s21, s21, exec_lo
	s_mov_b32 s29, exec_lo
	ds_read_b32 v11, v10
	s_waitcnt lgkmcnt(0)
	v_cmpx_ne_u32_e64 v11, v3
	s_cbranch_execz .LBB7_12
; %bb.14:                               ;   in Loop: Header=BB7_13 Depth=3
	s_mov_b32 s30, exec_lo
	v_cmpx_ne_u32_e64 s28, v11
	s_xor_b32 s30, exec_lo, s30
; %bb.15:                               ;   in Loop: Header=BB7_13 Depth=3
	v_add_nc_u32_e32 v9, 1, v9
                                        ; implicit-def: $vgpr10
	v_and_b32_e32 v9, 0xff, v9
; %bb.16:                               ;   in Loop: Header=BB7_13 Depth=3
	s_or_saveexec_b32 s30, s30
	s_mov_b32 s31, -1
	s_xor_b32 exec_lo, exec_lo, s30
	s_cbranch_execz .LBB7_11
; %bb.17:                               ;   in Loop: Header=BB7_13 Depth=3
	v_mov_b32_e32 v11, s28
	ds_cmpst_rtn_b32 v10, v10, v11, v3
	s_waitcnt lgkmcnt(0)
	v_cmp_ne_u32_e32 vcc_lo, s28, v10
	s_orn2_b32 s31, vcc_lo, exec_lo
	s_branch .LBB7_11
.LBB7_18:
	s_or_b32 exec_lo, exec_lo, s16
.LBB7_19:
	s_bfe_u32 s1, s1, 0x10008
	s_cmp_eq_u32 s1, 0
	s_cbranch_scc1 .LBB7_32
; %bb.20:
	s_waitcnt lgkmcnt(0)
	s_ashr_i32 s3, s2, 31
	v_subrev_nc_u32_e32 v1, s7, v0
	s_lshl_b64 s[4:5], s[2:3], 2
	s_mov_b32 s3, exec_lo
	s_add_u32 s4, s12, s4
	s_addc_u32 s5, s13, s5
	s_load_dwordx2 s[4:5], s[4:5], 0x0
	s_waitcnt lgkmcnt(0)
	v_add_nc_u32_e32 v1, s4, v1
	s_sub_i32 s1, s5, s7
	v_cmpx_gt_i32_e64 s1, v1
	s_cbranch_execz .LBB7_31
; %bb.21:
	s_mov_b32 s4, 0
	s_branch .LBB7_23
.LBB7_22:                               ;   in Loop: Header=BB7_23 Depth=1
	s_inst_prefetch 0x2
	s_or_b32 exec_lo, exec_lo, s5
	v_add_nc_u32_e32 v1, 0x80, v1
	v_cmp_le_i32_e32 vcc_lo, s1, v1
	s_or_b32 s4, vcc_lo, s4
	s_andn2_b32 exec_lo, exec_lo, s4
	s_cbranch_execz .LBB7_31
.LBB7_23:                               ; =>This Loop Header: Depth=1
                                        ;     Child Loop BB7_26 Depth 2
	v_ashrrev_i32_e32 v2, 31, v1
	s_mov_b32 s5, 0
                                        ; implicit-def: $sgpr8
	v_lshlrev_b64 v[2:3], 2, v[1:2]
	v_add_co_u32 v2, vcc_lo, s14, v2
	v_add_co_ci_u32_e64 v3, null, s15, v3, vcc_lo
	global_load_dword v2, v[2:3], off
	s_waitcnt vmcnt(0)
	v_subrev_nc_u32_e32 v2, s7, v2
	v_mul_lo_u32 v3, 0x89, v2
	v_and_b32_e32 v3, 0xff, v3
	s_inst_prefetch 0x1
	s_branch .LBB7_26
	.p2align	6
.LBB7_24:                               ;   in Loop: Header=BB7_26 Depth=2
	s_or_b32 exec_lo, exec_lo, s10
	s_andn2_b32 s8, s8, exec_lo
	s_and_b32 s10, s11, exec_lo
	s_or_b32 s8, s8, s10
.LBB7_25:                               ;   in Loop: Header=BB7_26 Depth=2
	s_or_b32 exec_lo, exec_lo, s9
	s_xor_b32 s9, s8, -1
	s_and_b32 s9, exec_lo, s9
	s_or_b32 s5, s9, s5
	s_andn2_b32 exec_lo, exec_lo, s5
	s_cbranch_execz .LBB7_22
.LBB7_26:                               ;   Parent Loop BB7_23 Depth=1
                                        ; =>  This Inner Loop Header: Depth=2
	v_lshl_add_u32 v7, v3, 2, 0
	s_andn2_b32 s8, s8, exec_lo
	s_mov_b32 s9, exec_lo
	ds_read_b32 v8, v7
	s_waitcnt lgkmcnt(0)
	v_cmpx_ne_u32_e64 v8, v2
	s_cbranch_execz .LBB7_25
; %bb.27:                               ;   in Loop: Header=BB7_26 Depth=2
	s_mov_b32 s10, exec_lo
	v_cmpx_ne_u32_e64 s28, v8
	s_xor_b32 s10, exec_lo, s10
; %bb.28:                               ;   in Loop: Header=BB7_26 Depth=2
	v_add_nc_u32_e32 v3, 1, v3
                                        ; implicit-def: $vgpr7
	v_and_b32_e32 v3, 0xff, v3
; %bb.29:                               ;   in Loop: Header=BB7_26 Depth=2
	s_or_saveexec_b32 s10, s10
	s_mov_b32 s11, -1
	s_xor_b32 exec_lo, exec_lo, s10
	s_cbranch_execz .LBB7_24
; %bb.30:                               ;   in Loop: Header=BB7_26 Depth=2
	v_mov_b32_e32 v8, s28
	ds_cmpst_rtn_b32 v7, v7, v8, v2
	s_waitcnt lgkmcnt(0)
	v_cmp_ne_u32_e32 vcc_lo, s28, v7
	s_orn2_b32 s11, vcc_lo, exec_lo
	s_branch .LBB7_24
.LBB7_31:
	s_or_b32 exec_lo, exec_lo, s3
.LBB7_32:
	s_waitcnt lgkmcnt(0)
	s_barrier
	buffer_gl0_inv
	s_and_saveexec_b32 s3, s0
	s_cbranch_execz .LBB7_41
; %bb.33:
	v_mbcnt_lo_u32_b32 v1, -1, 0
	v_and_b32_e32 v2, 4, v6
	v_cmp_eq_u32_e64 s0, 0x7f, v0
	v_mov_b32_e32 v6, 0
	s_mov_b32 s4, 0
	v_xor_b32_e32 v3, 31, v1
	v_mov_b32_e32 v1, 0
	v_add_nc_u32_e32 v2, 0, v2
	v_cmp_lt_u32_e32 vcc_lo, 63, v0
	v_lshrrev_b32_e64 v3, v3, -1
	s_branch .LBB7_35
.LBB7_34:                               ;   in Loop: Header=BB7_35 Depth=1
	s_or_b32 exec_lo, exec_lo, s1
	s_waitcnt lgkmcnt(0)
	s_barrier
	buffer_gl0_inv
	ds_read_b32 v7, v1 offset:1028
	v_add_co_u32 v4, s1, 0x80, v4
	s_xor_b32 s1, s1, -1
	v_add_nc_u32_e32 v5, 0x200, v5
	s_and_b32 s1, exec_lo, s1
	s_or_b32 s4, s1, s4
	s_waitcnt lgkmcnt(0)
	v_add_nc_u32_e32 v6, v7, v6
	s_andn2_b32 exec_lo, exec_lo, s4
	s_cbranch_execz .LBB7_41
.LBB7_35:                               ; =>This Inner Loop Header: Depth=1
	ds_read_b32 v7, v5
	s_waitcnt lgkmcnt(0)
	s_barrier
	buffer_gl0_inv
	v_cmp_gt_i32_e64 s1, s28, v7
	v_and_b32_e32 v8, s1, v3
	s_bcnt1_i32_b32 s5, s1
	v_mov_b32_e32 v9, s5
	v_bcnt_u32_b32 v8, v8, 0
	ds_write_b32 v2, v9 offset:1024
	s_waitcnt lgkmcnt(0)
	s_barrier
	buffer_gl0_inv
	s_and_saveexec_b32 s5, vcc_lo
	s_cbranch_execnz .LBB7_38
; %bb.36:                               ;   in Loop: Header=BB7_35 Depth=1
	s_or_b32 exec_lo, exec_lo, s5
	s_and_saveexec_b32 s5, s1
	s_cbranch_execnz .LBB7_39
.LBB7_37:                               ;   in Loop: Header=BB7_35 Depth=1
	s_or_b32 exec_lo, exec_lo, s5
	s_and_saveexec_b32 s1, s0
	s_cbranch_execz .LBB7_34
	s_branch .LBB7_40
.LBB7_38:                               ;   in Loop: Header=BB7_35 Depth=1
	ds_read_b32 v9, v1 offset:1024
	s_waitcnt lgkmcnt(0)
	v_add_nc_u32_e32 v8, v9, v8
	s_or_b32 exec_lo, exec_lo, s5
	s_and_saveexec_b32 s5, s1
	s_cbranch_execz .LBB7_37
.LBB7_39:                               ;   in Loop: Header=BB7_35 Depth=1
	v_lshlrev_b32_e32 v9, 2, v6
	v_lshlrev_b32_e32 v10, 2, v8
	v_add_nc_u32_e32 v9, 0, v9
	v_add3_u32 v9, v9, v10, -4
	ds_write_b32 v9, v7
	s_or_b32 exec_lo, exec_lo, s5
	s_and_saveexec_b32 s1, s0
	s_cbranch_execz .LBB7_34
.LBB7_40:                               ;   in Loop: Header=BB7_35 Depth=1
	ds_write_b32 v1, v8 offset:1028
	s_branch .LBB7_34
.LBB7_41:
	s_or_b32 exec_lo, exec_lo, s3
	s_ashr_i32 s3, s2, 31
	s_lshl_b64 s[0:1], s[2:3], 2
	s_mov_b32 s3, exec_lo
	s_add_u32 s0, s24, s0
	s_addc_u32 s1, s25, s1
	s_load_dwordx2 s[0:1], s[0:1], 0x0
	s_waitcnt lgkmcnt(0)
	s_sub_i32 s2, s1, s0
	v_cmpx_gt_i32_e64 s2, v0
	s_cbranch_execz .LBB7_51
; %bb.42:
	s_sub_i32 s3, s0, s6
	s_sub_i32 s0, s0, s1
	s_and_b32 s1, s2, 7
	s_cmp_lt_u32 s0, -7
	s_mov_b32 s8, 0
	s_cselect_b32 s4, -1, 0
	s_and_b32 s5, s2, -8
	s_cmp_lg_u32 s1, 0
	s_cselect_b32 s7, -1, 0
	s_branch .LBB7_44
.LBB7_43:                               ;   in Loop: Header=BB7_44 Depth=1
	v_ashrrev_i32_e32 v2, 31, v1
	v_add_nc_u32_e32 v0, 0x80, v0
	s_waitcnt lgkmcnt(0)
	v_add_nc_u32_e32 v3, s6, v3
	v_lshlrev_b64 v[1:2], 2, v[1:2]
	v_cmp_le_i32_e32 vcc_lo, s2, v0
	s_or_b32 s8, vcc_lo, s8
	v_add_co_u32 v1, s0, s26, v1
	v_add_co_ci_u32_e64 v2, null, s27, v2, s0
	global_store_dword v[1:2], v3, off
	s_andn2_b32 exec_lo, exec_lo, s8
	s_cbranch_execz .LBB7_51
.LBB7_44:                               ; =>This Loop Header: Depth=1
                                        ;     Child Loop BB7_46 Depth 2
                                        ;     Child Loop BB7_50 Depth 2
	v_lshl_add_u32 v1, v0, 2, 0
	s_andn2_b32 vcc_lo, exec_lo, s4
	s_mov_b32 s0, 0
	ds_read_b32 v3, v1
	v_mov_b32_e32 v1, s3
	s_cbranch_vccnz .LBB7_48
; %bb.45:                               ;   in Loop: Header=BB7_44 Depth=1
	v_mov_b32_e32 v1, s3
	s_mov_b32 s9, 0
	s_inst_prefetch 0x1
	.p2align	6
.LBB7_46:                               ;   Parent Loop BB7_44 Depth=1
                                        ; =>  This Inner Loop Header: Depth=2
	v_mov_b32_e32 v2, s9
	s_add_i32 s0, s0, 8
	s_add_i32 s9, s9, 32
	s_cmp_eq_u32 s5, s0
	ds_read2_b32 v[4:5], v2 offset1:1
	ds_read2_b32 v[6:7], v2 offset0:2 offset1:3
	ds_read2_b32 v[8:9], v2 offset0:4 offset1:5
	;; [unrolled: 1-line block ×3, first 2 shown]
	s_waitcnt lgkmcnt(3)
	v_cmp_gt_i32_e32 vcc_lo, v3, v4
	v_cndmask_b32_e64 v2, 0, 1, vcc_lo
	s_waitcnt lgkmcnt(2)
	v_cmp_gt_i32_e32 vcc_lo, v3, v6
	v_cndmask_b32_e64 v4, 0, 1, vcc_lo
	v_cmp_gt_i32_e32 vcc_lo, v3, v5
	v_add_co_ci_u32_e64 v1, null, v1, v2, vcc_lo
	s_waitcnt lgkmcnt(1)
	v_cmp_gt_i32_e32 vcc_lo, v3, v8
	v_cndmask_b32_e64 v2, 0, 1, vcc_lo
	v_cmp_gt_i32_e32 vcc_lo, v3, v7
	v_add_co_ci_u32_e64 v1, null, v1, v4, vcc_lo
	;; [unrolled: 5-line block ×3, first 2 shown]
	v_cmp_gt_i32_e32 vcc_lo, v3, v11
	v_add_co_ci_u32_e64 v1, null, v1, v4, vcc_lo
	s_cbranch_scc0 .LBB7_46
; %bb.47:                               ;   in Loop: Header=BB7_44 Depth=1
	s_inst_prefetch 0x2
	s_mov_b32 s0, s5
.LBB7_48:                               ;   in Loop: Header=BB7_44 Depth=1
	s_andn2_b32 vcc_lo, exec_lo, s7
	s_cbranch_vccnz .LBB7_43
; %bb.49:                               ;   in Loop: Header=BB7_44 Depth=1
	s_lshl_b32 s0, s0, 2
	s_mov_b32 s9, s1
	s_add_i32 s0, s0, 0
.LBB7_50:                               ;   Parent Loop BB7_44 Depth=1
                                        ; =>  This Inner Loop Header: Depth=2
	v_mov_b32_e32 v2, s0
	s_add_i32 s9, s9, -1
	s_add_i32 s0, s0, 4
	s_cmp_lg_u32 s9, 0
	ds_read_b32 v2, v2
	s_waitcnt lgkmcnt(0)
	v_cmp_gt_i32_e32 vcc_lo, v3, v2
	v_add_co_ci_u32_e64 v1, null, 0, v1, vcc_lo
	s_cbranch_scc1 .LBB7_50
	s_branch .LBB7_43
.LBB7_51:
	s_endpgm
	.section	.rodata,"a",@progbits
	.p2align	6, 0x0
	.amdhsa_kernel _ZN9rocsparseL35csrgemm_symbolic_fill_block_per_rowILj128ELj16ELj256ELj137ELj64EiiEEvT5_PKS1_S3_PKT4_S3_S6_S3_S6_S3_S6_PS1_21rocsparse_index_base_S8_S8_S8_bb
		.amdhsa_group_segment_fixed_size 0
		.amdhsa_private_segment_fixed_size 0
		.amdhsa_kernarg_size 108
		.amdhsa_user_sgpr_count 6
		.amdhsa_user_sgpr_private_segment_buffer 1
		.amdhsa_user_sgpr_dispatch_ptr 0
		.amdhsa_user_sgpr_queue_ptr 0
		.amdhsa_user_sgpr_kernarg_segment_ptr 1
		.amdhsa_user_sgpr_dispatch_id 0
		.amdhsa_user_sgpr_flat_scratch_init 0
		.amdhsa_user_sgpr_private_segment_size 0
		.amdhsa_wavefront_size32 1
		.amdhsa_uses_dynamic_stack 0
		.amdhsa_system_sgpr_private_segment_wavefront_offset 0
		.amdhsa_system_sgpr_workgroup_id_x 1
		.amdhsa_system_sgpr_workgroup_id_y 0
		.amdhsa_system_sgpr_workgroup_id_z 0
		.amdhsa_system_sgpr_workgroup_info 0
		.amdhsa_system_vgpr_workitem_id 0
		.amdhsa_next_free_vgpr 12
		.amdhsa_next_free_sgpr 32
		.amdhsa_reserve_vcc 1
		.amdhsa_reserve_flat_scratch 0
		.amdhsa_float_round_mode_32 0
		.amdhsa_float_round_mode_16_64 0
		.amdhsa_float_denorm_mode_32 3
		.amdhsa_float_denorm_mode_16_64 3
		.amdhsa_dx10_clamp 1
		.amdhsa_ieee_mode 1
		.amdhsa_fp16_overflow 0
		.amdhsa_workgroup_processor_mode 1
		.amdhsa_memory_ordered 1
		.amdhsa_forward_progress 1
		.amdhsa_shared_vgpr_count 0
		.amdhsa_exception_fp_ieee_invalid_op 0
		.amdhsa_exception_fp_denorm_src 0
		.amdhsa_exception_fp_ieee_div_zero 0
		.amdhsa_exception_fp_ieee_overflow 0
		.amdhsa_exception_fp_ieee_underflow 0
		.amdhsa_exception_fp_ieee_inexact 0
		.amdhsa_exception_int_div_zero 0
	.end_amdhsa_kernel
	.section	.text._ZN9rocsparseL35csrgemm_symbolic_fill_block_per_rowILj128ELj16ELj256ELj137ELj64EiiEEvT5_PKS1_S3_PKT4_S3_S6_S3_S6_S3_S6_PS1_21rocsparse_index_base_S8_S8_S8_bb,"axG",@progbits,_ZN9rocsparseL35csrgemm_symbolic_fill_block_per_rowILj128ELj16ELj256ELj137ELj64EiiEEvT5_PKS1_S3_PKT4_S3_S6_S3_S6_S3_S6_PS1_21rocsparse_index_base_S8_S8_S8_bb,comdat
.Lfunc_end7:
	.size	_ZN9rocsparseL35csrgemm_symbolic_fill_block_per_rowILj128ELj16ELj256ELj137ELj64EiiEEvT5_PKS1_S3_PKT4_S3_S6_S3_S6_S3_S6_PS1_21rocsparse_index_base_S8_S8_S8_bb, .Lfunc_end7-_ZN9rocsparseL35csrgemm_symbolic_fill_block_per_rowILj128ELj16ELj256ELj137ELj64EiiEEvT5_PKS1_S3_PKT4_S3_S6_S3_S6_S3_S6_PS1_21rocsparse_index_base_S8_S8_S8_bb
                                        ; -- End function
	.set _ZN9rocsparseL35csrgemm_symbolic_fill_block_per_rowILj128ELj16ELj256ELj137ELj64EiiEEvT5_PKS1_S3_PKT4_S3_S6_S3_S6_S3_S6_PS1_21rocsparse_index_base_S8_S8_S8_bb.num_vgpr, 12
	.set _ZN9rocsparseL35csrgemm_symbolic_fill_block_per_rowILj128ELj16ELj256ELj137ELj64EiiEEvT5_PKS1_S3_PKT4_S3_S6_S3_S6_S3_S6_PS1_21rocsparse_index_base_S8_S8_S8_bb.num_agpr, 0
	.set _ZN9rocsparseL35csrgemm_symbolic_fill_block_per_rowILj128ELj16ELj256ELj137ELj64EiiEEvT5_PKS1_S3_PKT4_S3_S6_S3_S6_S3_S6_PS1_21rocsparse_index_base_S8_S8_S8_bb.numbered_sgpr, 32
	.set _ZN9rocsparseL35csrgemm_symbolic_fill_block_per_rowILj128ELj16ELj256ELj137ELj64EiiEEvT5_PKS1_S3_PKT4_S3_S6_S3_S6_S3_S6_PS1_21rocsparse_index_base_S8_S8_S8_bb.num_named_barrier, 0
	.set _ZN9rocsparseL35csrgemm_symbolic_fill_block_per_rowILj128ELj16ELj256ELj137ELj64EiiEEvT5_PKS1_S3_PKT4_S3_S6_S3_S6_S3_S6_PS1_21rocsparse_index_base_S8_S8_S8_bb.private_seg_size, 0
	.set _ZN9rocsparseL35csrgemm_symbolic_fill_block_per_rowILj128ELj16ELj256ELj137ELj64EiiEEvT5_PKS1_S3_PKT4_S3_S6_S3_S6_S3_S6_PS1_21rocsparse_index_base_S8_S8_S8_bb.uses_vcc, 1
	.set _ZN9rocsparseL35csrgemm_symbolic_fill_block_per_rowILj128ELj16ELj256ELj137ELj64EiiEEvT5_PKS1_S3_PKT4_S3_S6_S3_S6_S3_S6_PS1_21rocsparse_index_base_S8_S8_S8_bb.uses_flat_scratch, 0
	.set _ZN9rocsparseL35csrgemm_symbolic_fill_block_per_rowILj128ELj16ELj256ELj137ELj64EiiEEvT5_PKS1_S3_PKT4_S3_S6_S3_S6_S3_S6_PS1_21rocsparse_index_base_S8_S8_S8_bb.has_dyn_sized_stack, 0
	.set _ZN9rocsparseL35csrgemm_symbolic_fill_block_per_rowILj128ELj16ELj256ELj137ELj64EiiEEvT5_PKS1_S3_PKT4_S3_S6_S3_S6_S3_S6_PS1_21rocsparse_index_base_S8_S8_S8_bb.has_recursion, 0
	.set _ZN9rocsparseL35csrgemm_symbolic_fill_block_per_rowILj128ELj16ELj256ELj137ELj64EiiEEvT5_PKS1_S3_PKT4_S3_S6_S3_S6_S3_S6_PS1_21rocsparse_index_base_S8_S8_S8_bb.has_indirect_call, 0
	.section	.AMDGPU.csdata,"",@progbits
; Kernel info:
; codeLenInByte = 1972
; TotalNumSgprs: 34
; NumVgprs: 12
; ScratchSize: 0
; MemoryBound: 0
; FloatMode: 240
; IeeeMode: 1
; LDSByteSize: 0 bytes/workgroup (compile time only)
; SGPRBlocks: 0
; VGPRBlocks: 1
; NumSGPRsForWavesPerEU: 34
; NumVGPRsForWavesPerEU: 12
; Occupancy: 16
; WaveLimiterHint : 1
; COMPUTE_PGM_RSRC2:SCRATCH_EN: 0
; COMPUTE_PGM_RSRC2:USER_SGPR: 6
; COMPUTE_PGM_RSRC2:TRAP_HANDLER: 0
; COMPUTE_PGM_RSRC2:TGID_X_EN: 1
; COMPUTE_PGM_RSRC2:TGID_Y_EN: 0
; COMPUTE_PGM_RSRC2:TGID_Z_EN: 0
; COMPUTE_PGM_RSRC2:TIDIG_COMP_CNT: 0
	.section	.text._ZN9rocsparseL35csrgemm_symbolic_fill_block_per_rowILj256ELj32ELj512ELj137ELj32EiiEEvT5_PKS1_S3_PKT4_S3_S6_S3_S6_S3_S6_PS1_21rocsparse_index_base_S8_S8_S8_bb,"axG",@progbits,_ZN9rocsparseL35csrgemm_symbolic_fill_block_per_rowILj256ELj32ELj512ELj137ELj32EiiEEvT5_PKS1_S3_PKT4_S3_S6_S3_S6_S3_S6_PS1_21rocsparse_index_base_S8_S8_S8_bb,comdat
	.globl	_ZN9rocsparseL35csrgemm_symbolic_fill_block_per_rowILj256ELj32ELj512ELj137ELj32EiiEEvT5_PKS1_S3_PKT4_S3_S6_S3_S6_S3_S6_PS1_21rocsparse_index_base_S8_S8_S8_bb ; -- Begin function _ZN9rocsparseL35csrgemm_symbolic_fill_block_per_rowILj256ELj32ELj512ELj137ELj32EiiEEvT5_PKS1_S3_PKT4_S3_S6_S3_S6_S3_S6_PS1_21rocsparse_index_base_S8_S8_S8_bb
	.p2align	8
	.type	_ZN9rocsparseL35csrgemm_symbolic_fill_block_per_rowILj256ELj32ELj512ELj137ELj32EiiEEvT5_PKS1_S3_PKT4_S3_S6_S3_S6_S3_S6_PS1_21rocsparse_index_base_S8_S8_S8_bb,@function
_ZN9rocsparseL35csrgemm_symbolic_fill_block_per_rowILj256ELj32ELj512ELj137ELj32EiiEEvT5_PKS1_S3_PKT4_S3_S6_S3_S6_S3_S6_PS1_21rocsparse_index_base_S8_S8_S8_bb: ; @_ZN9rocsparseL35csrgemm_symbolic_fill_block_per_rowILj256ELj32ELj512ELj137ELj32EiiEEvT5_PKS1_S3_PKT4_S3_S6_S3_S6_S3_S6_PS1_21rocsparse_index_base_S8_S8_S8_bb
; %bb.0:
	s_clause 0x3
	s_load_dwordx4 s[24:27], s[4:5], 0x48
	s_load_dwordx8 s[8:15], s[4:5], 0x28
	s_load_dword s30, s[4:5], 0x0
	s_load_dwordx8 s[16:23], s[4:5], 0x8
	v_cmp_gt_u32_e64 s0, 0x200, v0
	v_or_b32_e32 v4, 0xffffff00, v0
	v_lshl_add_u32 v5, v0, 2, 0
	s_and_saveexec_b32 s1, s0
	s_cbranch_execz .LBB8_3
; %bb.1:
	v_or_b32_e32 v1, 0xffffff00, v0
	v_lshl_add_u32 v2, v0, 2, 0
	s_waitcnt lgkmcnt(0)
	v_mov_b32_e32 v3, s30
	s_mov_b32 s2, 0
.LBB8_2:                                ; =>This Inner Loop Header: Depth=1
	v_add_co_u32 v1, s3, 0x100, v1
	s_xor_b32 s3, s3, -1
	ds_write_b32 v2, v3
	v_add_nc_u32_e32 v2, 0x400, v2
	s_and_b32 s3, exec_lo, s3
	s_or_b32 s2, s3, s2
	s_andn2_b32 exec_lo, exec_lo, s2
	s_cbranch_execnz .LBB8_2
.LBB8_3:
	s_or_b32 exec_lo, exec_lo, s1
	s_load_dword s1, s[4:5], 0x68
	s_waitcnt lgkmcnt(0)
	s_barrier
	buffer_gl0_inv
	s_load_dword s2, s[16:17], 0x0
	s_mov_b32 s3, 0
	v_lshrrev_b32_e32 v6, 5, v0
	s_bitcmp1_b32 s1, 0
	s_cselect_b32 s7, -1, 0
	s_waitcnt lgkmcnt(0)
	s_add_i32 s2, s2, s6
	s_lshl_b64 s[2:3], s[2:3], 2
	s_add_u32 s2, s18, s2
	s_addc_u32 s3, s19, s3
	s_load_dwordx4 s[16:19], s[4:5], 0x58
	s_load_dword s28, s[2:3], 0x0
	s_and_b32 vcc_lo, exec_lo, s7
	s_cbranch_vccz .LBB8_19
; %bb.4:
	s_waitcnt lgkmcnt(0)
	s_ashr_i32 s29, s28, 31
	v_subrev_nc_u32_e32 v1, s16, v6
	s_lshl_b64 s[2:3], s[28:29], 2
	s_add_u32 s2, s20, s2
	s_addc_u32 s3, s21, s3
	s_load_dwordx2 s[2:3], s[2:3], 0x0
	s_waitcnt lgkmcnt(0)
	v_add_nc_u32_e32 v1, s2, v1
	s_sub_i32 s2, s3, s16
	s_mov_b32 s3, exec_lo
	v_cmpx_gt_i32_e64 s2, v1
	s_cbranch_execz .LBB8_18
; %bb.5:
	v_and_b32_e32 v2, 31, v0
	s_mov_b32 s4, 0
	v_subrev_nc_u32_e32 v7, s17, v2
	s_branch .LBB8_7
.LBB8_6:                                ;   in Loop: Header=BB8_7 Depth=1
	s_or_b32 exec_lo, exec_lo, s5
	v_add_nc_u32_e32 v1, 8, v1
	v_cmp_le_i32_e32 vcc_lo, s2, v1
	s_or_b32 s4, vcc_lo, s4
	s_andn2_b32 exec_lo, exec_lo, s4
	s_cbranch_execz .LBB8_18
.LBB8_7:                                ; =>This Loop Header: Depth=1
                                        ;     Child Loop BB8_10 Depth 2
                                        ;       Child Loop BB8_13 Depth 3
	v_ashrrev_i32_e32 v2, 31, v1
	s_mov_b32 s5, exec_lo
	v_lshlrev_b64 v[2:3], 2, v[1:2]
	v_add_co_u32 v2, vcc_lo, s22, v2
	v_add_co_ci_u32_e64 v3, null, s23, v3, vcc_lo
	global_load_dword v2, v[2:3], off
	s_waitcnt vmcnt(0)
	v_subrev_nc_u32_e32 v2, s16, v2
	v_ashrrev_i32_e32 v3, 31, v2
	v_lshlrev_b64 v[2:3], 2, v[2:3]
	v_add_co_u32 v2, vcc_lo, s8, v2
	v_add_co_ci_u32_e64 v3, null, s9, v3, vcc_lo
	global_load_dwordx2 v[2:3], v[2:3], off
	s_waitcnt vmcnt(0)
	v_subrev_nc_u32_e32 v8, s17, v3
	v_add_nc_u32_e32 v2, v2, v7
	v_cmpx_lt_i32_e64 v2, v8
	s_cbranch_execz .LBB8_6
; %bb.8:                                ;   in Loop: Header=BB8_7 Depth=1
	s_mov_b32 s6, 0
	s_branch .LBB8_10
.LBB8_9:                                ;   in Loop: Header=BB8_10 Depth=2
	s_inst_prefetch 0x2
	s_or_b32 exec_lo, exec_lo, s7
	v_add_nc_u32_e32 v2, 32, v2
	v_cmp_ge_i32_e32 vcc_lo, v2, v8
	s_or_b32 s6, vcc_lo, s6
	s_andn2_b32 exec_lo, exec_lo, s6
	s_cbranch_execz .LBB8_6
.LBB8_10:                               ;   Parent Loop BB8_7 Depth=1
                                        ; =>  This Loop Header: Depth=2
                                        ;       Child Loop BB8_13 Depth 3
	v_ashrrev_i32_e32 v3, 31, v2
	s_mov_b32 s7, 0
                                        ; implicit-def: $sgpr20
	v_lshlrev_b64 v[9:10], 2, v[2:3]
	v_add_co_u32 v9, vcc_lo, s10, v9
	v_add_co_ci_u32_e64 v10, null, s11, v10, vcc_lo
	global_load_dword v3, v[9:10], off
	s_waitcnt vmcnt(0)
	v_subrev_nc_u32_e32 v3, s17, v3
	v_mul_lo_u32 v9, 0x89, v3
	v_and_b32_e32 v9, 0x1ff, v9
	s_inst_prefetch 0x1
	s_branch .LBB8_13
	.p2align	6
.LBB8_11:                               ;   in Loop: Header=BB8_13 Depth=3
	s_or_b32 exec_lo, exec_lo, s29
	s_andn2_b32 s20, s20, exec_lo
	s_and_b32 s29, s31, exec_lo
	s_or_b32 s20, s20, s29
.LBB8_12:                               ;   in Loop: Header=BB8_13 Depth=3
	s_or_b32 exec_lo, exec_lo, s21
	s_xor_b32 s21, s20, -1
	s_and_b32 s21, exec_lo, s21
	s_or_b32 s7, s21, s7
	s_andn2_b32 exec_lo, exec_lo, s7
	s_cbranch_execz .LBB8_9
.LBB8_13:                               ;   Parent Loop BB8_7 Depth=1
                                        ;     Parent Loop BB8_10 Depth=2
                                        ; =>    This Inner Loop Header: Depth=3
	v_lshl_add_u32 v10, v9, 2, 0
	s_andn2_b32 s20, s20, exec_lo
	s_mov_b32 s21, exec_lo
	ds_read_b32 v11, v10
	s_waitcnt lgkmcnt(0)
	v_cmpx_ne_u32_e64 v11, v3
	s_cbranch_execz .LBB8_12
; %bb.14:                               ;   in Loop: Header=BB8_13 Depth=3
	s_mov_b32 s29, exec_lo
	v_cmpx_ne_u32_e64 s30, v11
	s_xor_b32 s29, exec_lo, s29
; %bb.15:                               ;   in Loop: Header=BB8_13 Depth=3
	v_add_nc_u32_e32 v9, 1, v9
                                        ; implicit-def: $vgpr10
	v_and_b32_e32 v9, 0x1ff, v9
; %bb.16:                               ;   in Loop: Header=BB8_13 Depth=3
	s_or_saveexec_b32 s29, s29
	s_mov_b32 s31, -1
	s_xor_b32 exec_lo, exec_lo, s29
	s_cbranch_execz .LBB8_11
; %bb.17:                               ;   in Loop: Header=BB8_13 Depth=3
	v_mov_b32_e32 v11, s30
	ds_cmpst_rtn_b32 v10, v10, v11, v3
	s_waitcnt lgkmcnt(0)
	v_cmp_ne_u32_e32 vcc_lo, s30, v10
	s_orn2_b32 s31, vcc_lo, exec_lo
	s_branch .LBB8_11
.LBB8_18:
	s_or_b32 exec_lo, exec_lo, s3
.LBB8_19:
	s_bfe_u32 s1, s1, 0x10008
	s_cmp_eq_u32 s1, 0
	s_cbranch_scc1 .LBB8_32
; %bb.20:
	s_waitcnt lgkmcnt(0)
	s_ashr_i32 s29, s28, 31
	v_subrev_nc_u32_e32 v1, s19, v0
	s_lshl_b64 s[2:3], s[28:29], 2
	s_add_u32 s2, s12, s2
	s_addc_u32 s3, s13, s3
	s_load_dwordx2 s[2:3], s[2:3], 0x0
	s_waitcnt lgkmcnt(0)
	v_add_nc_u32_e32 v1, s2, v1
	s_sub_i32 s1, s3, s19
	s_mov_b32 s2, exec_lo
	v_cmpx_gt_i32_e64 s1, v1
	s_cbranch_execz .LBB8_31
; %bb.21:
	s_mov_b32 s3, 0
	s_branch .LBB8_23
.LBB8_22:                               ;   in Loop: Header=BB8_23 Depth=1
	s_inst_prefetch 0x2
	s_or_b32 exec_lo, exec_lo, s4
	v_add_nc_u32_e32 v1, 0x100, v1
	v_cmp_le_i32_e32 vcc_lo, s1, v1
	s_or_b32 s3, vcc_lo, s3
	s_andn2_b32 exec_lo, exec_lo, s3
	s_cbranch_execz .LBB8_31
.LBB8_23:                               ; =>This Loop Header: Depth=1
                                        ;     Child Loop BB8_26 Depth 2
	v_ashrrev_i32_e32 v2, 31, v1
	s_mov_b32 s4, 0
                                        ; implicit-def: $sgpr5
	v_lshlrev_b64 v[2:3], 2, v[1:2]
	v_add_co_u32 v2, vcc_lo, s14, v2
	v_add_co_ci_u32_e64 v3, null, s15, v3, vcc_lo
	global_load_dword v2, v[2:3], off
	s_waitcnt vmcnt(0)
	v_subrev_nc_u32_e32 v2, s19, v2
	v_mul_lo_u32 v3, 0x89, v2
	v_and_b32_e32 v3, 0x1ff, v3
	s_inst_prefetch 0x1
	s_branch .LBB8_26
	.p2align	6
.LBB8_24:                               ;   in Loop: Header=BB8_26 Depth=2
	s_or_b32 exec_lo, exec_lo, s7
	s_andn2_b32 s5, s5, exec_lo
	s_and_b32 s7, s8, exec_lo
	s_or_b32 s5, s5, s7
.LBB8_25:                               ;   in Loop: Header=BB8_26 Depth=2
	s_or_b32 exec_lo, exec_lo, s6
	s_xor_b32 s6, s5, -1
	s_and_b32 s6, exec_lo, s6
	s_or_b32 s4, s6, s4
	s_andn2_b32 exec_lo, exec_lo, s4
	s_cbranch_execz .LBB8_22
.LBB8_26:                               ;   Parent Loop BB8_23 Depth=1
                                        ; =>  This Inner Loop Header: Depth=2
	v_lshl_add_u32 v7, v3, 2, 0
	s_andn2_b32 s5, s5, exec_lo
	s_mov_b32 s6, exec_lo
	ds_read_b32 v8, v7
	s_waitcnt lgkmcnt(0)
	v_cmpx_ne_u32_e64 v8, v2
	s_cbranch_execz .LBB8_25
; %bb.27:                               ;   in Loop: Header=BB8_26 Depth=2
	s_mov_b32 s7, exec_lo
	v_cmpx_ne_u32_e64 s30, v8
	s_xor_b32 s7, exec_lo, s7
; %bb.28:                               ;   in Loop: Header=BB8_26 Depth=2
	v_add_nc_u32_e32 v3, 1, v3
                                        ; implicit-def: $vgpr7
	v_and_b32_e32 v3, 0x1ff, v3
; %bb.29:                               ;   in Loop: Header=BB8_26 Depth=2
	s_or_saveexec_b32 s7, s7
	s_mov_b32 s8, -1
	s_xor_b32 exec_lo, exec_lo, s7
	s_cbranch_execz .LBB8_24
; %bb.30:                               ;   in Loop: Header=BB8_26 Depth=2
	v_mov_b32_e32 v8, s30
	ds_cmpst_rtn_b32 v7, v7, v8, v2
	s_waitcnt lgkmcnt(0)
	v_cmp_ne_u32_e32 vcc_lo, s30, v7
	s_orn2_b32 s8, vcc_lo, exec_lo
	s_branch .LBB8_24
.LBB8_31:
	s_or_b32 exec_lo, exec_lo, s2
.LBB8_32:
	s_waitcnt lgkmcnt(0)
	s_barrier
	buffer_gl0_inv
	s_and_saveexec_b32 s8, s0
	s_cbranch_execz .LBB8_53
; %bb.33:
	v_mbcnt_lo_u32_b32 v3, -1, 0
	v_mov_b32_e32 v1, 0
	v_lshl_add_u32 v2, v6, 2, 0
	v_cmp_lt_u32_e64 s0, 31, v0
	v_cmp_lt_u32_e64 s1, 63, v0
	v_xor_b32_e32 v3, 31, v3
	v_cmp_lt_u32_e64 s2, 0x5f, v0
	v_cmp_lt_u32_e64 s3, 0x7f, v0
	;; [unrolled: 1-line block ×4, first 2 shown]
	v_lshrrev_b32_e64 v3, v3, -1
	v_cmp_lt_u32_e64 s6, 0xdf, v0
	v_mov_b32_e32 v6, 0
	s_mov_b32 s9, 0
	v_cmp_eq_u32_e32 vcc_lo, 0xff, v0
	s_branch .LBB8_35
.LBB8_34:                               ;   in Loop: Header=BB8_35 Depth=1
	s_or_b32 exec_lo, exec_lo, s7
	s_waitcnt lgkmcnt(0)
	s_barrier
	buffer_gl0_inv
	ds_read_b32 v7, v1 offset:2076
	v_add_co_u32 v4, s7, 0x100, v4
	s_xor_b32 s7, s7, -1
	v_add_nc_u32_e32 v5, 0x400, v5
	s_and_b32 s7, exec_lo, s7
	s_or_b32 s9, s7, s9
	s_waitcnt lgkmcnt(0)
	v_add_nc_u32_e32 v6, v7, v6
	s_andn2_b32 exec_lo, exec_lo, s9
	s_cbranch_execz .LBB8_53
.LBB8_35:                               ; =>This Inner Loop Header: Depth=1
	ds_read_b32 v7, v5
	s_waitcnt lgkmcnt(0)
	s_barrier
	buffer_gl0_inv
	v_cmp_gt_i32_e64 s7, s30, v7
	v_and_b32_e32 v8, s7, v3
	s_bcnt1_i32_b32 s10, s7
	v_mov_b32_e32 v9, s10
	v_bcnt_u32_b32 v8, v8, 0
	ds_write_b32 v2, v9 offset:2048
	s_waitcnt lgkmcnt(0)
	s_barrier
	buffer_gl0_inv
	s_and_saveexec_b32 s10, s0
	s_cbranch_execnz .LBB8_44
; %bb.36:                               ;   in Loop: Header=BB8_35 Depth=1
	s_or_b32 exec_lo, exec_lo, s10
	s_and_saveexec_b32 s10, s1
	s_cbranch_execnz .LBB8_45
.LBB8_37:                               ;   in Loop: Header=BB8_35 Depth=1
	s_or_b32 exec_lo, exec_lo, s10
	s_and_saveexec_b32 s10, s2
	s_cbranch_execnz .LBB8_46
.LBB8_38:                               ;   in Loop: Header=BB8_35 Depth=1
	s_or_b32 exec_lo, exec_lo, s10
	s_and_saveexec_b32 s10, s3
	s_cbranch_execnz .LBB8_47
.LBB8_39:                               ;   in Loop: Header=BB8_35 Depth=1
	s_or_b32 exec_lo, exec_lo, s10
	s_and_saveexec_b32 s10, s4
	s_cbranch_execnz .LBB8_48
.LBB8_40:                               ;   in Loop: Header=BB8_35 Depth=1
	s_or_b32 exec_lo, exec_lo, s10
	s_and_saveexec_b32 s10, s5
	s_cbranch_execnz .LBB8_49
.LBB8_41:                               ;   in Loop: Header=BB8_35 Depth=1
	s_or_b32 exec_lo, exec_lo, s10
	s_and_saveexec_b32 s10, s6
	s_cbranch_execnz .LBB8_50
.LBB8_42:                               ;   in Loop: Header=BB8_35 Depth=1
	s_or_b32 exec_lo, exec_lo, s10
	s_and_saveexec_b32 s10, s7
	s_cbranch_execnz .LBB8_51
.LBB8_43:                               ;   in Loop: Header=BB8_35 Depth=1
	s_or_b32 exec_lo, exec_lo, s10
	s_and_saveexec_b32 s7, vcc_lo
	s_cbranch_execz .LBB8_34
	s_branch .LBB8_52
.LBB8_44:                               ;   in Loop: Header=BB8_35 Depth=1
	ds_read_b32 v9, v1 offset:2048
	s_waitcnt lgkmcnt(0)
	v_add_nc_u32_e32 v8, v9, v8
	s_or_b32 exec_lo, exec_lo, s10
	s_and_saveexec_b32 s10, s1
	s_cbranch_execz .LBB8_37
.LBB8_45:                               ;   in Loop: Header=BB8_35 Depth=1
	ds_read_b32 v9, v1 offset:2052
	s_waitcnt lgkmcnt(0)
	v_add_nc_u32_e32 v8, v9, v8
	s_or_b32 exec_lo, exec_lo, s10
	s_and_saveexec_b32 s10, s2
	s_cbranch_execz .LBB8_38
.LBB8_46:                               ;   in Loop: Header=BB8_35 Depth=1
	ds_read_b32 v9, v1 offset:2056
	s_waitcnt lgkmcnt(0)
	v_add_nc_u32_e32 v8, v9, v8
	s_or_b32 exec_lo, exec_lo, s10
	s_and_saveexec_b32 s10, s3
	s_cbranch_execz .LBB8_39
.LBB8_47:                               ;   in Loop: Header=BB8_35 Depth=1
	ds_read_b32 v9, v1 offset:2060
	s_waitcnt lgkmcnt(0)
	v_add_nc_u32_e32 v8, v9, v8
	s_or_b32 exec_lo, exec_lo, s10
	s_and_saveexec_b32 s10, s4
	s_cbranch_execz .LBB8_40
.LBB8_48:                               ;   in Loop: Header=BB8_35 Depth=1
	ds_read_b32 v9, v1 offset:2064
	s_waitcnt lgkmcnt(0)
	v_add_nc_u32_e32 v8, v9, v8
	s_or_b32 exec_lo, exec_lo, s10
	s_and_saveexec_b32 s10, s5
	s_cbranch_execz .LBB8_41
.LBB8_49:                               ;   in Loop: Header=BB8_35 Depth=1
	ds_read_b32 v9, v1 offset:2068
	s_waitcnt lgkmcnt(0)
	v_add_nc_u32_e32 v8, v9, v8
	s_or_b32 exec_lo, exec_lo, s10
	s_and_saveexec_b32 s10, s6
	s_cbranch_execz .LBB8_42
.LBB8_50:                               ;   in Loop: Header=BB8_35 Depth=1
	ds_read_b32 v9, v1 offset:2072
	s_waitcnt lgkmcnt(0)
	v_add_nc_u32_e32 v8, v9, v8
	s_or_b32 exec_lo, exec_lo, s10
	s_and_saveexec_b32 s10, s7
	s_cbranch_execz .LBB8_43
.LBB8_51:                               ;   in Loop: Header=BB8_35 Depth=1
	v_lshlrev_b32_e32 v9, 2, v6
	v_lshlrev_b32_e32 v10, 2, v8
	v_add_nc_u32_e32 v9, 0, v9
	v_add3_u32 v9, v9, v10, -4
	ds_write_b32 v9, v7
	s_or_b32 exec_lo, exec_lo, s10
	s_and_saveexec_b32 s7, vcc_lo
	s_cbranch_execz .LBB8_34
.LBB8_52:                               ;   in Loop: Header=BB8_35 Depth=1
	ds_write_b32 v1, v8 offset:2076
	s_branch .LBB8_34
.LBB8_53:
	s_or_b32 exec_lo, exec_lo, s8
	s_ashr_i32 s29, s28, 31
	s_mov_b32 s3, exec_lo
	s_lshl_b64 s[0:1], s[28:29], 2
	s_add_u32 s0, s24, s0
	s_addc_u32 s1, s25, s1
	s_load_dwordx2 s[0:1], s[0:1], 0x0
	s_waitcnt lgkmcnt(0)
	s_sub_i32 s2, s1, s0
	v_cmpx_gt_i32_e64 s2, v0
	s_cbranch_execz .LBB8_63
; %bb.54:
	s_sub_i32 s3, s0, s18
	s_sub_i32 s0, s0, s1
	s_and_b32 s1, s2, 7
	s_cmp_lt_u32 s0, -7
	s_mov_b32 s7, 0
	s_cselect_b32 s4, -1, 0
	s_and_b32 s5, s2, -8
	s_cmp_lg_u32 s1, 0
	s_cselect_b32 s6, -1, 0
	s_branch .LBB8_56
.LBB8_55:                               ;   in Loop: Header=BB8_56 Depth=1
	v_ashrrev_i32_e32 v2, 31, v1
	v_add_nc_u32_e32 v0, 0x100, v0
	s_waitcnt lgkmcnt(0)
	v_add_nc_u32_e32 v3, s18, v3
	v_lshlrev_b64 v[1:2], 2, v[1:2]
	v_cmp_le_i32_e32 vcc_lo, s2, v0
	s_or_b32 s7, vcc_lo, s7
	v_add_co_u32 v1, s0, s26, v1
	v_add_co_ci_u32_e64 v2, null, s27, v2, s0
	global_store_dword v[1:2], v3, off
	s_andn2_b32 exec_lo, exec_lo, s7
	s_cbranch_execz .LBB8_63
.LBB8_56:                               ; =>This Loop Header: Depth=1
                                        ;     Child Loop BB8_58 Depth 2
                                        ;     Child Loop BB8_62 Depth 2
	v_lshl_add_u32 v1, v0, 2, 0
	s_andn2_b32 vcc_lo, exec_lo, s4
	s_mov_b32 s0, 0
	ds_read_b32 v3, v1
	v_mov_b32_e32 v1, s3
	s_cbranch_vccnz .LBB8_60
; %bb.57:                               ;   in Loop: Header=BB8_56 Depth=1
	v_mov_b32_e32 v1, s3
	s_mov_b32 s8, 0
	s_inst_prefetch 0x1
	.p2align	6
.LBB8_58:                               ;   Parent Loop BB8_56 Depth=1
                                        ; =>  This Inner Loop Header: Depth=2
	v_mov_b32_e32 v2, s8
	s_add_i32 s0, s0, 8
	s_add_i32 s8, s8, 32
	s_cmp_eq_u32 s5, s0
	ds_read2_b32 v[4:5], v2 offset1:1
	ds_read2_b32 v[6:7], v2 offset0:2 offset1:3
	ds_read2_b32 v[8:9], v2 offset0:4 offset1:5
	ds_read2_b32 v[10:11], v2 offset0:6 offset1:7
	s_waitcnt lgkmcnt(3)
	v_cmp_gt_i32_e32 vcc_lo, v3, v4
	v_cndmask_b32_e64 v2, 0, 1, vcc_lo
	s_waitcnt lgkmcnt(2)
	v_cmp_gt_i32_e32 vcc_lo, v3, v6
	v_cndmask_b32_e64 v4, 0, 1, vcc_lo
	v_cmp_gt_i32_e32 vcc_lo, v3, v5
	v_add_co_ci_u32_e64 v1, null, v1, v2, vcc_lo
	s_waitcnt lgkmcnt(1)
	v_cmp_gt_i32_e32 vcc_lo, v3, v8
	v_cndmask_b32_e64 v2, 0, 1, vcc_lo
	v_cmp_gt_i32_e32 vcc_lo, v3, v7
	v_add_co_ci_u32_e64 v1, null, v1, v4, vcc_lo
	;; [unrolled: 5-line block ×3, first 2 shown]
	v_cmp_gt_i32_e32 vcc_lo, v3, v11
	v_add_co_ci_u32_e64 v1, null, v1, v4, vcc_lo
	s_cbranch_scc0 .LBB8_58
; %bb.59:                               ;   in Loop: Header=BB8_56 Depth=1
	s_inst_prefetch 0x2
	s_mov_b32 s0, s5
.LBB8_60:                               ;   in Loop: Header=BB8_56 Depth=1
	s_andn2_b32 vcc_lo, exec_lo, s6
	s_cbranch_vccnz .LBB8_55
; %bb.61:                               ;   in Loop: Header=BB8_56 Depth=1
	s_lshl_b32 s0, s0, 2
	s_mov_b32 s8, s1
	s_add_i32 s0, s0, 0
.LBB8_62:                               ;   Parent Loop BB8_56 Depth=1
                                        ; =>  This Inner Loop Header: Depth=2
	v_mov_b32_e32 v2, s0
	s_add_i32 s8, s8, -1
	s_add_i32 s0, s0, 4
	s_cmp_lg_u32 s8, 0
	ds_read_b32 v2, v2
	s_waitcnt lgkmcnt(0)
	v_cmp_gt_i32_e32 vcc_lo, v3, v2
	v_add_co_ci_u32_e64 v1, null, 0, v1, vcc_lo
	s_cbranch_scc1 .LBB8_62
	s_branch .LBB8_55
.LBB8_63:
	s_endpgm
	.section	.rodata,"a",@progbits
	.p2align	6, 0x0
	.amdhsa_kernel _ZN9rocsparseL35csrgemm_symbolic_fill_block_per_rowILj256ELj32ELj512ELj137ELj32EiiEEvT5_PKS1_S3_PKT4_S3_S6_S3_S6_S3_S6_PS1_21rocsparse_index_base_S8_S8_S8_bb
		.amdhsa_group_segment_fixed_size 0
		.amdhsa_private_segment_fixed_size 0
		.amdhsa_kernarg_size 108
		.amdhsa_user_sgpr_count 6
		.amdhsa_user_sgpr_private_segment_buffer 1
		.amdhsa_user_sgpr_dispatch_ptr 0
		.amdhsa_user_sgpr_queue_ptr 0
		.amdhsa_user_sgpr_kernarg_segment_ptr 1
		.amdhsa_user_sgpr_dispatch_id 0
		.amdhsa_user_sgpr_flat_scratch_init 0
		.amdhsa_user_sgpr_private_segment_size 0
		.amdhsa_wavefront_size32 1
		.amdhsa_uses_dynamic_stack 0
		.amdhsa_system_sgpr_private_segment_wavefront_offset 0
		.amdhsa_system_sgpr_workgroup_id_x 1
		.amdhsa_system_sgpr_workgroup_id_y 0
		.amdhsa_system_sgpr_workgroup_id_z 0
		.amdhsa_system_sgpr_workgroup_info 0
		.amdhsa_system_vgpr_workitem_id 0
		.amdhsa_next_free_vgpr 12
		.amdhsa_next_free_sgpr 32
		.amdhsa_reserve_vcc 1
		.amdhsa_reserve_flat_scratch 0
		.amdhsa_float_round_mode_32 0
		.amdhsa_float_round_mode_16_64 0
		.amdhsa_float_denorm_mode_32 3
		.amdhsa_float_denorm_mode_16_64 3
		.amdhsa_dx10_clamp 1
		.amdhsa_ieee_mode 1
		.amdhsa_fp16_overflow 0
		.amdhsa_workgroup_processor_mode 1
		.amdhsa_memory_ordered 1
		.amdhsa_forward_progress 1
		.amdhsa_shared_vgpr_count 0
		.amdhsa_exception_fp_ieee_invalid_op 0
		.amdhsa_exception_fp_denorm_src 0
		.amdhsa_exception_fp_ieee_div_zero 0
		.amdhsa_exception_fp_ieee_overflow 0
		.amdhsa_exception_fp_ieee_underflow 0
		.amdhsa_exception_fp_ieee_inexact 0
		.amdhsa_exception_int_div_zero 0
	.end_amdhsa_kernel
	.section	.text._ZN9rocsparseL35csrgemm_symbolic_fill_block_per_rowILj256ELj32ELj512ELj137ELj32EiiEEvT5_PKS1_S3_PKT4_S3_S6_S3_S6_S3_S6_PS1_21rocsparse_index_base_S8_S8_S8_bb,"axG",@progbits,_ZN9rocsparseL35csrgemm_symbolic_fill_block_per_rowILj256ELj32ELj512ELj137ELj32EiiEEvT5_PKS1_S3_PKT4_S3_S6_S3_S6_S3_S6_PS1_21rocsparse_index_base_S8_S8_S8_bb,comdat
.Lfunc_end8:
	.size	_ZN9rocsparseL35csrgemm_symbolic_fill_block_per_rowILj256ELj32ELj512ELj137ELj32EiiEEvT5_PKS1_S3_PKT4_S3_S6_S3_S6_S3_S6_PS1_21rocsparse_index_base_S8_S8_S8_bb, .Lfunc_end8-_ZN9rocsparseL35csrgemm_symbolic_fill_block_per_rowILj256ELj32ELj512ELj137ELj32EiiEEvT5_PKS1_S3_PKT4_S3_S6_S3_S6_S3_S6_PS1_21rocsparse_index_base_S8_S8_S8_bb
                                        ; -- End function
	.set _ZN9rocsparseL35csrgemm_symbolic_fill_block_per_rowILj256ELj32ELj512ELj137ELj32EiiEEvT5_PKS1_S3_PKT4_S3_S6_S3_S6_S3_S6_PS1_21rocsparse_index_base_S8_S8_S8_bb.num_vgpr, 12
	.set _ZN9rocsparseL35csrgemm_symbolic_fill_block_per_rowILj256ELj32ELj512ELj137ELj32EiiEEvT5_PKS1_S3_PKT4_S3_S6_S3_S6_S3_S6_PS1_21rocsparse_index_base_S8_S8_S8_bb.num_agpr, 0
	.set _ZN9rocsparseL35csrgemm_symbolic_fill_block_per_rowILj256ELj32ELj512ELj137ELj32EiiEEvT5_PKS1_S3_PKT4_S3_S6_S3_S6_S3_S6_PS1_21rocsparse_index_base_S8_S8_S8_bb.numbered_sgpr, 32
	.set _ZN9rocsparseL35csrgemm_symbolic_fill_block_per_rowILj256ELj32ELj512ELj137ELj32EiiEEvT5_PKS1_S3_PKT4_S3_S6_S3_S6_S3_S6_PS1_21rocsparse_index_base_S8_S8_S8_bb.num_named_barrier, 0
	.set _ZN9rocsparseL35csrgemm_symbolic_fill_block_per_rowILj256ELj32ELj512ELj137ELj32EiiEEvT5_PKS1_S3_PKT4_S3_S6_S3_S6_S3_S6_PS1_21rocsparse_index_base_S8_S8_S8_bb.private_seg_size, 0
	.set _ZN9rocsparseL35csrgemm_symbolic_fill_block_per_rowILj256ELj32ELj512ELj137ELj32EiiEEvT5_PKS1_S3_PKT4_S3_S6_S3_S6_S3_S6_PS1_21rocsparse_index_base_S8_S8_S8_bb.uses_vcc, 1
	.set _ZN9rocsparseL35csrgemm_symbolic_fill_block_per_rowILj256ELj32ELj512ELj137ELj32EiiEEvT5_PKS1_S3_PKT4_S3_S6_S3_S6_S3_S6_PS1_21rocsparse_index_base_S8_S8_S8_bb.uses_flat_scratch, 0
	.set _ZN9rocsparseL35csrgemm_symbolic_fill_block_per_rowILj256ELj32ELj512ELj137ELj32EiiEEvT5_PKS1_S3_PKT4_S3_S6_S3_S6_S3_S6_PS1_21rocsparse_index_base_S8_S8_S8_bb.has_dyn_sized_stack, 0
	.set _ZN9rocsparseL35csrgemm_symbolic_fill_block_per_rowILj256ELj32ELj512ELj137ELj32EiiEEvT5_PKS1_S3_PKT4_S3_S6_S3_S6_S3_S6_PS1_21rocsparse_index_base_S8_S8_S8_bb.has_recursion, 0
	.set _ZN9rocsparseL35csrgemm_symbolic_fill_block_per_rowILj256ELj32ELj512ELj137ELj32EiiEEvT5_PKS1_S3_PKT4_S3_S6_S3_S6_S3_S6_PS1_21rocsparse_index_base_S8_S8_S8_bb.has_indirect_call, 0
	.section	.AMDGPU.csdata,"",@progbits
; Kernel info:
; codeLenInByte = 2228
; TotalNumSgprs: 34
; NumVgprs: 12
; ScratchSize: 0
; MemoryBound: 0
; FloatMode: 240
; IeeeMode: 1
; LDSByteSize: 0 bytes/workgroup (compile time only)
; SGPRBlocks: 0
; VGPRBlocks: 1
; NumSGPRsForWavesPerEU: 34
; NumVGPRsForWavesPerEU: 12
; Occupancy: 16
; WaveLimiterHint : 1
; COMPUTE_PGM_RSRC2:SCRATCH_EN: 0
; COMPUTE_PGM_RSRC2:USER_SGPR: 6
; COMPUTE_PGM_RSRC2:TRAP_HANDLER: 0
; COMPUTE_PGM_RSRC2:TGID_X_EN: 1
; COMPUTE_PGM_RSRC2:TGID_Y_EN: 0
; COMPUTE_PGM_RSRC2:TGID_Z_EN: 0
; COMPUTE_PGM_RSRC2:TIDIG_COMP_CNT: 0
	.section	.text._ZN9rocsparseL35csrgemm_symbolic_fill_block_per_rowILj256ELj32ELj512ELj137ELj64EiiEEvT5_PKS1_S3_PKT4_S3_S6_S3_S6_S3_S6_PS1_21rocsparse_index_base_S8_S8_S8_bb,"axG",@progbits,_ZN9rocsparseL35csrgemm_symbolic_fill_block_per_rowILj256ELj32ELj512ELj137ELj64EiiEEvT5_PKS1_S3_PKT4_S3_S6_S3_S6_S3_S6_PS1_21rocsparse_index_base_S8_S8_S8_bb,comdat
	.globl	_ZN9rocsparseL35csrgemm_symbolic_fill_block_per_rowILj256ELj32ELj512ELj137ELj64EiiEEvT5_PKS1_S3_PKT4_S3_S6_S3_S6_S3_S6_PS1_21rocsparse_index_base_S8_S8_S8_bb ; -- Begin function _ZN9rocsparseL35csrgemm_symbolic_fill_block_per_rowILj256ELj32ELj512ELj137ELj64EiiEEvT5_PKS1_S3_PKT4_S3_S6_S3_S6_S3_S6_PS1_21rocsparse_index_base_S8_S8_S8_bb
	.p2align	8
	.type	_ZN9rocsparseL35csrgemm_symbolic_fill_block_per_rowILj256ELj32ELj512ELj137ELj64EiiEEvT5_PKS1_S3_PKT4_S3_S6_S3_S6_S3_S6_PS1_21rocsparse_index_base_S8_S8_S8_bb,@function
_ZN9rocsparseL35csrgemm_symbolic_fill_block_per_rowILj256ELj32ELj512ELj137ELj64EiiEEvT5_PKS1_S3_PKT4_S3_S6_S3_S6_S3_S6_PS1_21rocsparse_index_base_S8_S8_S8_bb: ; @_ZN9rocsparseL35csrgemm_symbolic_fill_block_per_rowILj256ELj32ELj512ELj137ELj64EiiEEvT5_PKS1_S3_PKT4_S3_S6_S3_S6_S3_S6_PS1_21rocsparse_index_base_S8_S8_S8_bb
; %bb.0:
	s_clause 0x3
	s_load_dwordx4 s[24:27], s[4:5], 0x48
	s_load_dwordx8 s[8:15], s[4:5], 0x28
	s_load_dword s28, s[4:5], 0x0
	s_load_dwordx8 s[16:23], s[4:5], 0x8
	v_cmp_gt_u32_e64 s0, 0x200, v0
	v_or_b32_e32 v4, 0xffffff00, v0
	v_lshl_add_u32 v5, v0, 2, 0
	s_and_saveexec_b32 s1, s0
	s_cbranch_execz .LBB9_3
; %bb.1:
	v_or_b32_e32 v1, 0xffffff00, v0
	v_lshl_add_u32 v2, v0, 2, 0
	s_waitcnt lgkmcnt(0)
	v_mov_b32_e32 v3, s28
	s_mov_b32 s2, 0
.LBB9_2:                                ; =>This Inner Loop Header: Depth=1
	v_add_co_u32 v1, s3, 0x100, v1
	s_xor_b32 s3, s3, -1
	ds_write_b32 v2, v3
	v_add_nc_u32_e32 v2, 0x400, v2
	s_and_b32 s3, exec_lo, s3
	s_or_b32 s2, s3, s2
	s_andn2_b32 exec_lo, exec_lo, s2
	s_cbranch_execnz .LBB9_2
.LBB9_3:
	s_or_b32 exec_lo, exec_lo, s1
	s_load_dword s1, s[4:5], 0x68
	s_waitcnt lgkmcnt(0)
	s_barrier
	buffer_gl0_inv
	s_load_dword s2, s[16:17], 0x0
	s_mov_b32 s3, 0
	s_bitcmp1_b32 s1, 0
	s_cselect_b32 s17, -1, 0
	s_waitcnt lgkmcnt(0)
	s_add_i32 s2, s2, s6
	s_lshl_b64 s[2:3], s[2:3], 2
	s_add_u32 s2, s18, s2
	s_addc_u32 s3, s19, s3
	s_load_dwordx4 s[4:7], s[4:5], 0x58
	s_load_dword s16, s[2:3], 0x0
	s_and_b32 vcc_lo, exec_lo, s17
	s_cbranch_vccz .LBB9_19
; %bb.4:
	s_waitcnt lgkmcnt(0)
	s_ashr_i32 s17, s16, 31
	v_lshrrev_b32_e32 v1, 5, v0
	s_lshl_b64 s[2:3], s[16:17], 2
	s_add_u32 s2, s20, s2
	s_addc_u32 s3, s21, s3
	v_subrev_nc_u32_e32 v1, s4, v1
	s_load_dwordx2 s[2:3], s[2:3], 0x0
	s_waitcnt lgkmcnt(0)
	v_add_nc_u32_e32 v1, s2, v1
	s_sub_i32 s2, s3, s4
	s_mov_b32 s3, exec_lo
	v_cmpx_gt_i32_e64 s2, v1
	s_cbranch_execz .LBB9_18
; %bb.5:
	v_and_b32_e32 v2, 31, v0
	s_mov_b32 s17, 0
	v_subrev_nc_u32_e32 v6, s5, v2
	s_branch .LBB9_7
.LBB9_6:                                ;   in Loop: Header=BB9_7 Depth=1
	s_or_b32 exec_lo, exec_lo, s18
	v_add_nc_u32_e32 v1, 8, v1
	v_cmp_le_i32_e32 vcc_lo, s2, v1
	s_or_b32 s17, vcc_lo, s17
	s_andn2_b32 exec_lo, exec_lo, s17
	s_cbranch_execz .LBB9_18
.LBB9_7:                                ; =>This Loop Header: Depth=1
                                        ;     Child Loop BB9_10 Depth 2
                                        ;       Child Loop BB9_13 Depth 3
	v_ashrrev_i32_e32 v2, 31, v1
	s_mov_b32 s18, exec_lo
	v_lshlrev_b64 v[2:3], 2, v[1:2]
	v_add_co_u32 v2, vcc_lo, s22, v2
	v_add_co_ci_u32_e64 v3, null, s23, v3, vcc_lo
	global_load_dword v2, v[2:3], off
	s_waitcnt vmcnt(0)
	v_subrev_nc_u32_e32 v2, s4, v2
	v_ashrrev_i32_e32 v3, 31, v2
	v_lshlrev_b64 v[2:3], 2, v[2:3]
	v_add_co_u32 v2, vcc_lo, s8, v2
	v_add_co_ci_u32_e64 v3, null, s9, v3, vcc_lo
	global_load_dwordx2 v[2:3], v[2:3], off
	s_waitcnt vmcnt(0)
	v_subrev_nc_u32_e32 v7, s5, v3
	v_add_nc_u32_e32 v2, v2, v6
	v_cmpx_lt_i32_e64 v2, v7
	s_cbranch_execz .LBB9_6
; %bb.8:                                ;   in Loop: Header=BB9_7 Depth=1
	s_mov_b32 s19, 0
	s_branch .LBB9_10
.LBB9_9:                                ;   in Loop: Header=BB9_10 Depth=2
	s_inst_prefetch 0x2
	s_or_b32 exec_lo, exec_lo, s20
	v_add_nc_u32_e32 v2, 32, v2
	v_cmp_ge_i32_e32 vcc_lo, v2, v7
	s_or_b32 s19, vcc_lo, s19
	s_andn2_b32 exec_lo, exec_lo, s19
	s_cbranch_execz .LBB9_6
.LBB9_10:                               ;   Parent Loop BB9_7 Depth=1
                                        ; =>  This Loop Header: Depth=2
                                        ;       Child Loop BB9_13 Depth 3
	v_ashrrev_i32_e32 v3, 31, v2
	s_mov_b32 s20, 0
                                        ; implicit-def: $sgpr21
	v_lshlrev_b64 v[8:9], 2, v[2:3]
	v_add_co_u32 v8, vcc_lo, s10, v8
	v_add_co_ci_u32_e64 v9, null, s11, v9, vcc_lo
	global_load_dword v3, v[8:9], off
	s_waitcnt vmcnt(0)
	v_subrev_nc_u32_e32 v3, s5, v3
	v_mul_lo_u32 v8, 0x89, v3
	v_and_b32_e32 v8, 0x1ff, v8
	s_inst_prefetch 0x1
	s_branch .LBB9_13
	.p2align	6
.LBB9_11:                               ;   in Loop: Header=BB9_13 Depth=3
	s_or_b32 exec_lo, exec_lo, s30
	s_andn2_b32 s21, s21, exec_lo
	s_and_b32 s30, s31, exec_lo
	s_or_b32 s21, s21, s30
.LBB9_12:                               ;   in Loop: Header=BB9_13 Depth=3
	s_or_b32 exec_lo, exec_lo, s29
	s_xor_b32 s29, s21, -1
	s_and_b32 s29, exec_lo, s29
	s_or_b32 s20, s29, s20
	s_andn2_b32 exec_lo, exec_lo, s20
	s_cbranch_execz .LBB9_9
.LBB9_13:                               ;   Parent Loop BB9_7 Depth=1
                                        ;     Parent Loop BB9_10 Depth=2
                                        ; =>    This Inner Loop Header: Depth=3
	v_lshl_add_u32 v9, v8, 2, 0
	s_andn2_b32 s21, s21, exec_lo
	s_mov_b32 s29, exec_lo
	ds_read_b32 v10, v9
	s_waitcnt lgkmcnt(0)
	v_cmpx_ne_u32_e64 v10, v3
	s_cbranch_execz .LBB9_12
; %bb.14:                               ;   in Loop: Header=BB9_13 Depth=3
	s_mov_b32 s30, exec_lo
	v_cmpx_ne_u32_e64 s28, v10
	s_xor_b32 s30, exec_lo, s30
; %bb.15:                               ;   in Loop: Header=BB9_13 Depth=3
	v_add_nc_u32_e32 v8, 1, v8
                                        ; implicit-def: $vgpr9
	v_and_b32_e32 v8, 0x1ff, v8
; %bb.16:                               ;   in Loop: Header=BB9_13 Depth=3
	s_or_saveexec_b32 s30, s30
	s_mov_b32 s31, -1
	s_xor_b32 exec_lo, exec_lo, s30
	s_cbranch_execz .LBB9_11
; %bb.17:                               ;   in Loop: Header=BB9_13 Depth=3
	v_mov_b32_e32 v10, s28
	ds_cmpst_rtn_b32 v9, v9, v10, v3
	s_waitcnt lgkmcnt(0)
	v_cmp_ne_u32_e32 vcc_lo, s28, v9
	s_orn2_b32 s31, vcc_lo, exec_lo
	s_branch .LBB9_11
.LBB9_18:
	s_or_b32 exec_lo, exec_lo, s3
.LBB9_19:
	s_bfe_u32 s1, s1, 0x10008
	s_cmp_eq_u32 s1, 0
	s_cbranch_scc1 .LBB9_32
; %bb.20:
	s_waitcnt lgkmcnt(0)
	s_ashr_i32 s17, s16, 31
	v_subrev_nc_u32_e32 v1, s7, v0
	s_lshl_b64 s[2:3], s[16:17], 2
	s_add_u32 s2, s12, s2
	s_addc_u32 s3, s13, s3
	s_load_dwordx2 s[2:3], s[2:3], 0x0
	s_waitcnt lgkmcnt(0)
	v_add_nc_u32_e32 v1, s2, v1
	s_sub_i32 s1, s3, s7
	s_mov_b32 s2, exec_lo
	v_cmpx_gt_i32_e64 s1, v1
	s_cbranch_execz .LBB9_31
; %bb.21:
	s_mov_b32 s3, 0
	s_branch .LBB9_23
.LBB9_22:                               ;   in Loop: Header=BB9_23 Depth=1
	s_inst_prefetch 0x2
	s_or_b32 exec_lo, exec_lo, s4
	v_add_nc_u32_e32 v1, 0x100, v1
	v_cmp_le_i32_e32 vcc_lo, s1, v1
	s_or_b32 s3, vcc_lo, s3
	s_andn2_b32 exec_lo, exec_lo, s3
	s_cbranch_execz .LBB9_31
.LBB9_23:                               ; =>This Loop Header: Depth=1
                                        ;     Child Loop BB9_26 Depth 2
	v_ashrrev_i32_e32 v2, 31, v1
	s_mov_b32 s4, 0
                                        ; implicit-def: $sgpr5
	v_lshlrev_b64 v[2:3], 2, v[1:2]
	v_add_co_u32 v2, vcc_lo, s14, v2
	v_add_co_ci_u32_e64 v3, null, s15, v3, vcc_lo
	global_load_dword v2, v[2:3], off
	s_waitcnt vmcnt(0)
	v_subrev_nc_u32_e32 v2, s7, v2
	v_mul_lo_u32 v3, 0x89, v2
	v_and_b32_e32 v3, 0x1ff, v3
	s_inst_prefetch 0x1
	s_branch .LBB9_26
	.p2align	6
.LBB9_24:                               ;   in Loop: Header=BB9_26 Depth=2
	s_or_b32 exec_lo, exec_lo, s9
	s_andn2_b32 s5, s5, exec_lo
	s_and_b32 s9, s10, exec_lo
	s_or_b32 s5, s5, s9
.LBB9_25:                               ;   in Loop: Header=BB9_26 Depth=2
	s_or_b32 exec_lo, exec_lo, s8
	s_xor_b32 s8, s5, -1
	s_and_b32 s8, exec_lo, s8
	s_or_b32 s4, s8, s4
	s_andn2_b32 exec_lo, exec_lo, s4
	s_cbranch_execz .LBB9_22
.LBB9_26:                               ;   Parent Loop BB9_23 Depth=1
                                        ; =>  This Inner Loop Header: Depth=2
	v_lshl_add_u32 v6, v3, 2, 0
	s_andn2_b32 s5, s5, exec_lo
	s_mov_b32 s8, exec_lo
	ds_read_b32 v7, v6
	s_waitcnt lgkmcnt(0)
	v_cmpx_ne_u32_e64 v7, v2
	s_cbranch_execz .LBB9_25
; %bb.27:                               ;   in Loop: Header=BB9_26 Depth=2
	s_mov_b32 s9, exec_lo
	v_cmpx_ne_u32_e64 s28, v7
	s_xor_b32 s9, exec_lo, s9
; %bb.28:                               ;   in Loop: Header=BB9_26 Depth=2
	v_add_nc_u32_e32 v3, 1, v3
                                        ; implicit-def: $vgpr6
	v_and_b32_e32 v3, 0x1ff, v3
; %bb.29:                               ;   in Loop: Header=BB9_26 Depth=2
	s_or_saveexec_b32 s9, s9
	s_mov_b32 s10, -1
	s_xor_b32 exec_lo, exec_lo, s9
	s_cbranch_execz .LBB9_24
; %bb.30:                               ;   in Loop: Header=BB9_26 Depth=2
	v_mov_b32_e32 v7, s28
	ds_cmpst_rtn_b32 v6, v6, v7, v2
	s_waitcnt lgkmcnt(0)
	v_cmp_ne_u32_e32 vcc_lo, s28, v6
	s_orn2_b32 s10, vcc_lo, exec_lo
	s_branch .LBB9_24
.LBB9_31:
	s_or_b32 exec_lo, exec_lo, s2
.LBB9_32:
	s_waitcnt lgkmcnt(0)
	s_barrier
	buffer_gl0_inv
	s_and_saveexec_b32 s4, s0
	s_cbranch_execz .LBB9_45
; %bb.33:
	v_mbcnt_lo_u32_b32 v2, -1, 0
	v_lshrrev_b32_e32 v3, 4, v0
	v_mov_b32_e32 v1, 0
	v_cmp_lt_u32_e64 s0, 63, v0
	v_cmp_lt_u32_e64 s1, 0x7f, v0
	v_xor_b32_e32 v2, 31, v2
	v_and_b32_e32 v3, 12, v3
	v_cmp_lt_u32_e64 s2, 0xbf, v0
	v_mov_b32_e32 v6, 0
	s_mov_b32 s5, 0
	v_lshrrev_b32_e64 v2, v2, -1
	v_add_nc_u32_e32 v3, 0, v3
	v_cmp_eq_u32_e32 vcc_lo, 0xff, v0
	s_branch .LBB9_35
.LBB9_34:                               ;   in Loop: Header=BB9_35 Depth=1
	s_or_b32 exec_lo, exec_lo, s3
	s_waitcnt lgkmcnt(0)
	s_barrier
	buffer_gl0_inv
	ds_read_b32 v7, v1 offset:2060
	v_add_co_u32 v4, s3, 0x100, v4
	s_xor_b32 s3, s3, -1
	v_add_nc_u32_e32 v5, 0x400, v5
	s_and_b32 s3, exec_lo, s3
	s_or_b32 s5, s3, s5
	s_waitcnt lgkmcnt(0)
	v_add_nc_u32_e32 v6, v7, v6
	s_andn2_b32 exec_lo, exec_lo, s5
	s_cbranch_execz .LBB9_45
.LBB9_35:                               ; =>This Inner Loop Header: Depth=1
	ds_read_b32 v7, v5
	s_waitcnt lgkmcnt(0)
	s_barrier
	buffer_gl0_inv
	v_cmp_gt_i32_e64 s3, s28, v7
	v_and_b32_e32 v8, s3, v2
	s_bcnt1_i32_b32 s7, s3
	v_mov_b32_e32 v9, s7
	v_bcnt_u32_b32 v8, v8, 0
	ds_write_b32 v3, v9 offset:2048
	s_waitcnt lgkmcnt(0)
	s_barrier
	buffer_gl0_inv
	s_and_saveexec_b32 s7, s0
	s_cbranch_execnz .LBB9_40
; %bb.36:                               ;   in Loop: Header=BB9_35 Depth=1
	s_or_b32 exec_lo, exec_lo, s7
	s_and_saveexec_b32 s7, s1
	s_cbranch_execnz .LBB9_41
.LBB9_37:                               ;   in Loop: Header=BB9_35 Depth=1
	s_or_b32 exec_lo, exec_lo, s7
	s_and_saveexec_b32 s7, s2
	s_cbranch_execnz .LBB9_42
.LBB9_38:                               ;   in Loop: Header=BB9_35 Depth=1
	s_or_b32 exec_lo, exec_lo, s7
	s_and_saveexec_b32 s7, s3
	s_cbranch_execnz .LBB9_43
.LBB9_39:                               ;   in Loop: Header=BB9_35 Depth=1
	s_or_b32 exec_lo, exec_lo, s7
	s_and_saveexec_b32 s3, vcc_lo
	s_cbranch_execz .LBB9_34
	s_branch .LBB9_44
.LBB9_40:                               ;   in Loop: Header=BB9_35 Depth=1
	ds_read_b32 v9, v1 offset:2048
	s_waitcnt lgkmcnt(0)
	v_add_nc_u32_e32 v8, v9, v8
	s_or_b32 exec_lo, exec_lo, s7
	s_and_saveexec_b32 s7, s1
	s_cbranch_execz .LBB9_37
.LBB9_41:                               ;   in Loop: Header=BB9_35 Depth=1
	ds_read_b32 v9, v1 offset:2052
	s_waitcnt lgkmcnt(0)
	v_add_nc_u32_e32 v8, v9, v8
	s_or_b32 exec_lo, exec_lo, s7
	s_and_saveexec_b32 s7, s2
	s_cbranch_execz .LBB9_38
.LBB9_42:                               ;   in Loop: Header=BB9_35 Depth=1
	ds_read_b32 v9, v1 offset:2056
	s_waitcnt lgkmcnt(0)
	v_add_nc_u32_e32 v8, v9, v8
	s_or_b32 exec_lo, exec_lo, s7
	s_and_saveexec_b32 s7, s3
	s_cbranch_execz .LBB9_39
.LBB9_43:                               ;   in Loop: Header=BB9_35 Depth=1
	v_lshlrev_b32_e32 v9, 2, v6
	v_lshlrev_b32_e32 v10, 2, v8
	v_add_nc_u32_e32 v9, 0, v9
	v_add3_u32 v9, v9, v10, -4
	ds_write_b32 v9, v7
	s_or_b32 exec_lo, exec_lo, s7
	s_and_saveexec_b32 s3, vcc_lo
	s_cbranch_execz .LBB9_34
.LBB9_44:                               ;   in Loop: Header=BB9_35 Depth=1
	ds_write_b32 v1, v8 offset:2060
	s_branch .LBB9_34
.LBB9_45:
	s_or_b32 exec_lo, exec_lo, s4
	s_ashr_i32 s17, s16, 31
	s_mov_b32 s3, exec_lo
	s_lshl_b64 s[0:1], s[16:17], 2
	s_add_u32 s0, s24, s0
	s_addc_u32 s1, s25, s1
	s_load_dwordx2 s[0:1], s[0:1], 0x0
	s_waitcnt lgkmcnt(0)
	s_sub_i32 s2, s1, s0
	v_cmpx_gt_i32_e64 s2, v0
	s_cbranch_execz .LBB9_55
; %bb.46:
	s_sub_i32 s3, s0, s6
	s_sub_i32 s0, s0, s1
	s_and_b32 s1, s2, 7
	s_cmp_lt_u32 s0, -7
	s_mov_b32 s8, 0
	s_cselect_b32 s4, -1, 0
	s_and_b32 s5, s2, -8
	s_cmp_lg_u32 s1, 0
	s_cselect_b32 s7, -1, 0
	s_branch .LBB9_48
.LBB9_47:                               ;   in Loop: Header=BB9_48 Depth=1
	v_ashrrev_i32_e32 v2, 31, v1
	v_add_nc_u32_e32 v0, 0x100, v0
	s_waitcnt lgkmcnt(0)
	v_add_nc_u32_e32 v3, s6, v3
	v_lshlrev_b64 v[1:2], 2, v[1:2]
	v_cmp_le_i32_e32 vcc_lo, s2, v0
	s_or_b32 s8, vcc_lo, s8
	v_add_co_u32 v1, s0, s26, v1
	v_add_co_ci_u32_e64 v2, null, s27, v2, s0
	global_store_dword v[1:2], v3, off
	s_andn2_b32 exec_lo, exec_lo, s8
	s_cbranch_execz .LBB9_55
.LBB9_48:                               ; =>This Loop Header: Depth=1
                                        ;     Child Loop BB9_50 Depth 2
                                        ;     Child Loop BB9_54 Depth 2
	v_lshl_add_u32 v1, v0, 2, 0
	s_andn2_b32 vcc_lo, exec_lo, s4
	s_mov_b32 s0, 0
	ds_read_b32 v3, v1
	v_mov_b32_e32 v1, s3
	s_cbranch_vccnz .LBB9_52
; %bb.49:                               ;   in Loop: Header=BB9_48 Depth=1
	v_mov_b32_e32 v1, s3
	s_mov_b32 s9, 0
	s_inst_prefetch 0x1
	.p2align	6
.LBB9_50:                               ;   Parent Loop BB9_48 Depth=1
                                        ; =>  This Inner Loop Header: Depth=2
	v_mov_b32_e32 v2, s9
	s_add_i32 s0, s0, 8
	s_add_i32 s9, s9, 32
	s_cmp_eq_u32 s5, s0
	ds_read2_b32 v[4:5], v2 offset1:1
	ds_read2_b32 v[6:7], v2 offset0:2 offset1:3
	ds_read2_b32 v[8:9], v2 offset0:4 offset1:5
	;; [unrolled: 1-line block ×3, first 2 shown]
	s_waitcnt lgkmcnt(3)
	v_cmp_gt_i32_e32 vcc_lo, v3, v4
	v_cndmask_b32_e64 v2, 0, 1, vcc_lo
	s_waitcnt lgkmcnt(2)
	v_cmp_gt_i32_e32 vcc_lo, v3, v6
	v_cndmask_b32_e64 v4, 0, 1, vcc_lo
	v_cmp_gt_i32_e32 vcc_lo, v3, v5
	v_add_co_ci_u32_e64 v1, null, v1, v2, vcc_lo
	s_waitcnt lgkmcnt(1)
	v_cmp_gt_i32_e32 vcc_lo, v3, v8
	v_cndmask_b32_e64 v2, 0, 1, vcc_lo
	v_cmp_gt_i32_e32 vcc_lo, v3, v7
	v_add_co_ci_u32_e64 v1, null, v1, v4, vcc_lo
	;; [unrolled: 5-line block ×3, first 2 shown]
	v_cmp_gt_i32_e32 vcc_lo, v3, v11
	v_add_co_ci_u32_e64 v1, null, v1, v4, vcc_lo
	s_cbranch_scc0 .LBB9_50
; %bb.51:                               ;   in Loop: Header=BB9_48 Depth=1
	s_inst_prefetch 0x2
	s_mov_b32 s0, s5
.LBB9_52:                               ;   in Loop: Header=BB9_48 Depth=1
	s_andn2_b32 vcc_lo, exec_lo, s7
	s_cbranch_vccnz .LBB9_47
; %bb.53:                               ;   in Loop: Header=BB9_48 Depth=1
	s_lshl_b32 s0, s0, 2
	s_mov_b32 s9, s1
	s_add_i32 s0, s0, 0
.LBB9_54:                               ;   Parent Loop BB9_48 Depth=1
                                        ; =>  This Inner Loop Header: Depth=2
	v_mov_b32_e32 v2, s0
	s_add_i32 s9, s9, -1
	s_add_i32 s0, s0, 4
	s_cmp_lg_u32 s9, 0
	ds_read_b32 v2, v2
	s_waitcnt lgkmcnt(0)
	v_cmp_gt_i32_e32 vcc_lo, v3, v2
	v_add_co_ci_u32_e64 v1, null, 0, v1, vcc_lo
	s_cbranch_scc1 .LBB9_54
	s_branch .LBB9_47
.LBB9_55:
	s_endpgm
	.section	.rodata,"a",@progbits
	.p2align	6, 0x0
	.amdhsa_kernel _ZN9rocsparseL35csrgemm_symbolic_fill_block_per_rowILj256ELj32ELj512ELj137ELj64EiiEEvT5_PKS1_S3_PKT4_S3_S6_S3_S6_S3_S6_PS1_21rocsparse_index_base_S8_S8_S8_bb
		.amdhsa_group_segment_fixed_size 0
		.amdhsa_private_segment_fixed_size 0
		.amdhsa_kernarg_size 108
		.amdhsa_user_sgpr_count 6
		.amdhsa_user_sgpr_private_segment_buffer 1
		.amdhsa_user_sgpr_dispatch_ptr 0
		.amdhsa_user_sgpr_queue_ptr 0
		.amdhsa_user_sgpr_kernarg_segment_ptr 1
		.amdhsa_user_sgpr_dispatch_id 0
		.amdhsa_user_sgpr_flat_scratch_init 0
		.amdhsa_user_sgpr_private_segment_size 0
		.amdhsa_wavefront_size32 1
		.amdhsa_uses_dynamic_stack 0
		.amdhsa_system_sgpr_private_segment_wavefront_offset 0
		.amdhsa_system_sgpr_workgroup_id_x 1
		.amdhsa_system_sgpr_workgroup_id_y 0
		.amdhsa_system_sgpr_workgroup_id_z 0
		.amdhsa_system_sgpr_workgroup_info 0
		.amdhsa_system_vgpr_workitem_id 0
		.amdhsa_next_free_vgpr 12
		.amdhsa_next_free_sgpr 32
		.amdhsa_reserve_vcc 1
		.amdhsa_reserve_flat_scratch 0
		.amdhsa_float_round_mode_32 0
		.amdhsa_float_round_mode_16_64 0
		.amdhsa_float_denorm_mode_32 3
		.amdhsa_float_denorm_mode_16_64 3
		.amdhsa_dx10_clamp 1
		.amdhsa_ieee_mode 1
		.amdhsa_fp16_overflow 0
		.amdhsa_workgroup_processor_mode 1
		.amdhsa_memory_ordered 1
		.amdhsa_forward_progress 1
		.amdhsa_shared_vgpr_count 0
		.amdhsa_exception_fp_ieee_invalid_op 0
		.amdhsa_exception_fp_denorm_src 0
		.amdhsa_exception_fp_ieee_div_zero 0
		.amdhsa_exception_fp_ieee_overflow 0
		.amdhsa_exception_fp_ieee_underflow 0
		.amdhsa_exception_fp_ieee_inexact 0
		.amdhsa_exception_int_div_zero 0
	.end_amdhsa_kernel
	.section	.text._ZN9rocsparseL35csrgemm_symbolic_fill_block_per_rowILj256ELj32ELj512ELj137ELj64EiiEEvT5_PKS1_S3_PKT4_S3_S6_S3_S6_S3_S6_PS1_21rocsparse_index_base_S8_S8_S8_bb,"axG",@progbits,_ZN9rocsparseL35csrgemm_symbolic_fill_block_per_rowILj256ELj32ELj512ELj137ELj64EiiEEvT5_PKS1_S3_PKT4_S3_S6_S3_S6_S3_S6_PS1_21rocsparse_index_base_S8_S8_S8_bb,comdat
.Lfunc_end9:
	.size	_ZN9rocsparseL35csrgemm_symbolic_fill_block_per_rowILj256ELj32ELj512ELj137ELj64EiiEEvT5_PKS1_S3_PKT4_S3_S6_S3_S6_S3_S6_PS1_21rocsparse_index_base_S8_S8_S8_bb, .Lfunc_end9-_ZN9rocsparseL35csrgemm_symbolic_fill_block_per_rowILj256ELj32ELj512ELj137ELj64EiiEEvT5_PKS1_S3_PKT4_S3_S6_S3_S6_S3_S6_PS1_21rocsparse_index_base_S8_S8_S8_bb
                                        ; -- End function
	.set _ZN9rocsparseL35csrgemm_symbolic_fill_block_per_rowILj256ELj32ELj512ELj137ELj64EiiEEvT5_PKS1_S3_PKT4_S3_S6_S3_S6_S3_S6_PS1_21rocsparse_index_base_S8_S8_S8_bb.num_vgpr, 12
	.set _ZN9rocsparseL35csrgemm_symbolic_fill_block_per_rowILj256ELj32ELj512ELj137ELj64EiiEEvT5_PKS1_S3_PKT4_S3_S6_S3_S6_S3_S6_PS1_21rocsparse_index_base_S8_S8_S8_bb.num_agpr, 0
	.set _ZN9rocsparseL35csrgemm_symbolic_fill_block_per_rowILj256ELj32ELj512ELj137ELj64EiiEEvT5_PKS1_S3_PKT4_S3_S6_S3_S6_S3_S6_PS1_21rocsparse_index_base_S8_S8_S8_bb.numbered_sgpr, 32
	.set _ZN9rocsparseL35csrgemm_symbolic_fill_block_per_rowILj256ELj32ELj512ELj137ELj64EiiEEvT5_PKS1_S3_PKT4_S3_S6_S3_S6_S3_S6_PS1_21rocsparse_index_base_S8_S8_S8_bb.num_named_barrier, 0
	.set _ZN9rocsparseL35csrgemm_symbolic_fill_block_per_rowILj256ELj32ELj512ELj137ELj64EiiEEvT5_PKS1_S3_PKT4_S3_S6_S3_S6_S3_S6_PS1_21rocsparse_index_base_S8_S8_S8_bb.private_seg_size, 0
	.set _ZN9rocsparseL35csrgemm_symbolic_fill_block_per_rowILj256ELj32ELj512ELj137ELj64EiiEEvT5_PKS1_S3_PKT4_S3_S6_S3_S6_S3_S6_PS1_21rocsparse_index_base_S8_S8_S8_bb.uses_vcc, 1
	.set _ZN9rocsparseL35csrgemm_symbolic_fill_block_per_rowILj256ELj32ELj512ELj137ELj64EiiEEvT5_PKS1_S3_PKT4_S3_S6_S3_S6_S3_S6_PS1_21rocsparse_index_base_S8_S8_S8_bb.uses_flat_scratch, 0
	.set _ZN9rocsparseL35csrgemm_symbolic_fill_block_per_rowILj256ELj32ELj512ELj137ELj64EiiEEvT5_PKS1_S3_PKT4_S3_S6_S3_S6_S3_S6_PS1_21rocsparse_index_base_S8_S8_S8_bb.has_dyn_sized_stack, 0
	.set _ZN9rocsparseL35csrgemm_symbolic_fill_block_per_rowILj256ELj32ELj512ELj137ELj64EiiEEvT5_PKS1_S3_PKT4_S3_S6_S3_S6_S3_S6_PS1_21rocsparse_index_base_S8_S8_S8_bb.has_recursion, 0
	.set _ZN9rocsparseL35csrgemm_symbolic_fill_block_per_rowILj256ELj32ELj512ELj137ELj64EiiEEvT5_PKS1_S3_PKT4_S3_S6_S3_S6_S3_S6_PS1_21rocsparse_index_base_S8_S8_S8_bb.has_indirect_call, 0
	.section	.AMDGPU.csdata,"",@progbits
; Kernel info:
; codeLenInByte = 2036
; TotalNumSgprs: 34
; NumVgprs: 12
; ScratchSize: 0
; MemoryBound: 0
; FloatMode: 240
; IeeeMode: 1
; LDSByteSize: 0 bytes/workgroup (compile time only)
; SGPRBlocks: 0
; VGPRBlocks: 1
; NumSGPRsForWavesPerEU: 34
; NumVGPRsForWavesPerEU: 12
; Occupancy: 16
; WaveLimiterHint : 1
; COMPUTE_PGM_RSRC2:SCRATCH_EN: 0
; COMPUTE_PGM_RSRC2:USER_SGPR: 6
; COMPUTE_PGM_RSRC2:TRAP_HANDLER: 0
; COMPUTE_PGM_RSRC2:TGID_X_EN: 1
; COMPUTE_PGM_RSRC2:TGID_Y_EN: 0
; COMPUTE_PGM_RSRC2:TGID_Z_EN: 0
; COMPUTE_PGM_RSRC2:TIDIG_COMP_CNT: 0
	.section	.text._ZN9rocsparseL35csrgemm_symbolic_fill_block_per_rowILj512ELj32ELj1024ELj137ELj32EiiEEvT5_PKS1_S3_PKT4_S3_S6_S3_S6_S3_S6_PS1_21rocsparse_index_base_S8_S8_S8_bb,"axG",@progbits,_ZN9rocsparseL35csrgemm_symbolic_fill_block_per_rowILj512ELj32ELj1024ELj137ELj32EiiEEvT5_PKS1_S3_PKT4_S3_S6_S3_S6_S3_S6_PS1_21rocsparse_index_base_S8_S8_S8_bb,comdat
	.globl	_ZN9rocsparseL35csrgemm_symbolic_fill_block_per_rowILj512ELj32ELj1024ELj137ELj32EiiEEvT5_PKS1_S3_PKT4_S3_S6_S3_S6_S3_S6_PS1_21rocsparse_index_base_S8_S8_S8_bb ; -- Begin function _ZN9rocsparseL35csrgemm_symbolic_fill_block_per_rowILj512ELj32ELj1024ELj137ELj32EiiEEvT5_PKS1_S3_PKT4_S3_S6_S3_S6_S3_S6_PS1_21rocsparse_index_base_S8_S8_S8_bb
	.p2align	8
	.type	_ZN9rocsparseL35csrgemm_symbolic_fill_block_per_rowILj512ELj32ELj1024ELj137ELj32EiiEEvT5_PKS1_S3_PKT4_S3_S6_S3_S6_S3_S6_PS1_21rocsparse_index_base_S8_S8_S8_bb,@function
_ZN9rocsparseL35csrgemm_symbolic_fill_block_per_rowILj512ELj32ELj1024ELj137ELj32EiiEEvT5_PKS1_S3_PKT4_S3_S6_S3_S6_S3_S6_PS1_21rocsparse_index_base_S8_S8_S8_bb: ; @_ZN9rocsparseL35csrgemm_symbolic_fill_block_per_rowILj512ELj32ELj1024ELj137ELj32EiiEEvT5_PKS1_S3_PKT4_S3_S6_S3_S6_S3_S6_PS1_21rocsparse_index_base_S8_S8_S8_bb
; %bb.0:
	s_clause 0x3
	s_load_dword s30, s[4:5], 0x0
	s_load_dwordx4 s[24:27], s[4:5], 0x48
	s_load_dwordx8 s[8:15], s[4:5], 0x28
	s_load_dwordx8 s[16:23], s[4:5], 0x8
	v_lshl_add_u32 v4, v0, 2, 0
	v_or_b32_e32 v5, 0xfffffe00, v0
	s_mov_b32 s0, 0
	v_mov_b32_e32 v1, v4
	v_mov_b32_e32 v3, v5
	s_waitcnt lgkmcnt(0)
	v_mov_b32_e32 v2, s30
.LBB10_1:                               ; =>This Inner Loop Header: Depth=1
	v_add_co_u32 v3, s1, 0x200, v3
	s_xor_b32 s1, s1, -1
	ds_write_b32 v1, v2
	v_add_nc_u32_e32 v1, 0x800, v1
	s_and_b32 s1, exec_lo, s1
	s_or_b32 s0, s1, s0
	s_andn2_b32 exec_lo, exec_lo, s0
	s_cbranch_execnz .LBB10_1
; %bb.2:
	s_or_b32 exec_lo, exec_lo, s0
	s_load_dword s0, s[4:5], 0x68
	s_waitcnt lgkmcnt(0)
	s_barrier
	buffer_gl0_inv
	s_load_dword s1, s[16:17], 0x0
	s_mov_b32 s3, 0
	v_lshrrev_b32_e32 v6, 5, v0
	s_bitcmp1_b32 s0, 0
	s_cselect_b32 s7, -1, 0
	s_waitcnt lgkmcnt(0)
	s_add_i32 s2, s1, s6
	s_lshl_b64 s[2:3], s[2:3], 2
	s_add_u32 s2, s18, s2
	s_addc_u32 s3, s19, s3
	s_load_dwordx4 s[16:19], s[4:5], 0x58
	s_load_dword s28, s[2:3], 0x0
	s_and_b32 vcc_lo, exec_lo, s7
	s_cbranch_vccz .LBB10_18
; %bb.3:
	s_waitcnt lgkmcnt(0)
	s_ashr_i32 s29, s28, 31
	v_subrev_nc_u32_e32 v1, s16, v6
	s_lshl_b64 s[2:3], s[28:29], 2
	s_add_u32 s2, s20, s2
	s_addc_u32 s3, s21, s3
	s_load_dwordx2 s[2:3], s[2:3], 0x0
	s_waitcnt lgkmcnt(0)
	v_add_nc_u32_e32 v1, s2, v1
	s_sub_i32 s1, s3, s16
	s_mov_b32 s2, exec_lo
	v_cmpx_gt_i32_e64 s1, v1
	s_cbranch_execz .LBB10_17
; %bb.4:
	v_and_b32_e32 v2, 31, v0
	s_mov_b32 s3, 0
	v_subrev_nc_u32_e32 v7, s17, v2
	s_branch .LBB10_6
.LBB10_5:                               ;   in Loop: Header=BB10_6 Depth=1
	s_or_b32 exec_lo, exec_lo, s4
	v_add_nc_u32_e32 v1, 16, v1
	v_cmp_le_i32_e32 vcc_lo, s1, v1
	s_or_b32 s3, vcc_lo, s3
	s_andn2_b32 exec_lo, exec_lo, s3
	s_cbranch_execz .LBB10_17
.LBB10_6:                               ; =>This Loop Header: Depth=1
                                        ;     Child Loop BB10_9 Depth 2
                                        ;       Child Loop BB10_12 Depth 3
	v_ashrrev_i32_e32 v2, 31, v1
	s_mov_b32 s4, exec_lo
	v_lshlrev_b64 v[2:3], 2, v[1:2]
	v_add_co_u32 v2, vcc_lo, s22, v2
	v_add_co_ci_u32_e64 v3, null, s23, v3, vcc_lo
	global_load_dword v2, v[2:3], off
	s_waitcnt vmcnt(0)
	v_subrev_nc_u32_e32 v2, s16, v2
	v_ashrrev_i32_e32 v3, 31, v2
	v_lshlrev_b64 v[2:3], 2, v[2:3]
	v_add_co_u32 v2, vcc_lo, s8, v2
	v_add_co_ci_u32_e64 v3, null, s9, v3, vcc_lo
	global_load_dwordx2 v[2:3], v[2:3], off
	s_waitcnt vmcnt(0)
	v_subrev_nc_u32_e32 v8, s17, v3
	v_add_nc_u32_e32 v2, v2, v7
	v_cmpx_lt_i32_e64 v2, v8
	s_cbranch_execz .LBB10_5
; %bb.7:                                ;   in Loop: Header=BB10_6 Depth=1
	s_mov_b32 s5, 0
	s_branch .LBB10_9
.LBB10_8:                               ;   in Loop: Header=BB10_9 Depth=2
	s_inst_prefetch 0x2
	s_or_b32 exec_lo, exec_lo, s6
	v_add_nc_u32_e32 v2, 32, v2
	v_cmp_ge_i32_e32 vcc_lo, v2, v8
	s_or_b32 s5, vcc_lo, s5
	s_andn2_b32 exec_lo, exec_lo, s5
	s_cbranch_execz .LBB10_5
.LBB10_9:                               ;   Parent Loop BB10_6 Depth=1
                                        ; =>  This Loop Header: Depth=2
                                        ;       Child Loop BB10_12 Depth 3
	v_ashrrev_i32_e32 v3, 31, v2
	s_mov_b32 s6, 0
                                        ; implicit-def: $sgpr7
	v_lshlrev_b64 v[9:10], 2, v[2:3]
	v_add_co_u32 v9, vcc_lo, s10, v9
	v_add_co_ci_u32_e64 v10, null, s11, v10, vcc_lo
	global_load_dword v3, v[9:10], off
	s_waitcnt vmcnt(0)
	v_subrev_nc_u32_e32 v3, s17, v3
	v_mul_lo_u32 v9, 0x89, v3
	v_and_b32_e32 v9, 0x3ff, v9
	s_inst_prefetch 0x1
	s_branch .LBB10_12
	.p2align	6
.LBB10_10:                              ;   in Loop: Header=BB10_12 Depth=3
	s_or_b32 exec_lo, exec_lo, s21
	s_andn2_b32 s7, s7, exec_lo
	s_and_b32 s21, s29, exec_lo
	s_or_b32 s7, s7, s21
.LBB10_11:                              ;   in Loop: Header=BB10_12 Depth=3
	s_or_b32 exec_lo, exec_lo, s20
	s_xor_b32 s20, s7, -1
	s_and_b32 s20, exec_lo, s20
	s_or_b32 s6, s20, s6
	s_andn2_b32 exec_lo, exec_lo, s6
	s_cbranch_execz .LBB10_8
.LBB10_12:                              ;   Parent Loop BB10_6 Depth=1
                                        ;     Parent Loop BB10_9 Depth=2
                                        ; =>    This Inner Loop Header: Depth=3
	v_lshl_add_u32 v10, v9, 2, 0
	s_andn2_b32 s7, s7, exec_lo
	s_mov_b32 s20, exec_lo
	ds_read_b32 v11, v10
	s_waitcnt lgkmcnt(0)
	v_cmpx_ne_u32_e64 v11, v3
	s_cbranch_execz .LBB10_11
; %bb.13:                               ;   in Loop: Header=BB10_12 Depth=3
	s_mov_b32 s21, exec_lo
	v_cmpx_ne_u32_e64 s30, v11
	s_xor_b32 s21, exec_lo, s21
; %bb.14:                               ;   in Loop: Header=BB10_12 Depth=3
	v_add_nc_u32_e32 v9, 1, v9
                                        ; implicit-def: $vgpr10
	v_and_b32_e32 v9, 0x3ff, v9
; %bb.15:                               ;   in Loop: Header=BB10_12 Depth=3
	s_or_saveexec_b32 s21, s21
	s_mov_b32 s29, -1
	s_xor_b32 exec_lo, exec_lo, s21
	s_cbranch_execz .LBB10_10
; %bb.16:                               ;   in Loop: Header=BB10_12 Depth=3
	v_mov_b32_e32 v11, s30
	ds_cmpst_rtn_b32 v10, v10, v11, v3
	s_waitcnt lgkmcnt(0)
	v_cmp_ne_u32_e32 vcc_lo, s30, v10
	s_orn2_b32 s29, vcc_lo, exec_lo
	s_branch .LBB10_10
.LBB10_17:
	s_or_b32 exec_lo, exec_lo, s2
.LBB10_18:
	s_bfe_u32 s0, s0, 0x10008
	s_cmp_eq_u32 s0, 0
	s_cbranch_scc1 .LBB10_31
; %bb.19:
	s_waitcnt lgkmcnt(0)
	s_ashr_i32 s29, s28, 31
	v_subrev_nc_u32_e32 v1, s19, v0
	s_lshl_b64 s[0:1], s[28:29], 2
	s_add_u32 s0, s12, s0
	s_addc_u32 s1, s13, s1
	s_load_dwordx2 s[0:1], s[0:1], 0x0
	s_waitcnt lgkmcnt(0)
	v_add_nc_u32_e32 v1, s0, v1
	s_sub_i32 s0, s1, s19
	s_mov_b32 s1, exec_lo
	v_cmpx_gt_i32_e64 s0, v1
	s_cbranch_execz .LBB10_30
; %bb.20:
	s_mov_b32 s2, 0
	s_branch .LBB10_22
.LBB10_21:                              ;   in Loop: Header=BB10_22 Depth=1
	s_inst_prefetch 0x2
	s_or_b32 exec_lo, exec_lo, s3
	v_add_nc_u32_e32 v1, 0x200, v1
	v_cmp_le_i32_e32 vcc_lo, s0, v1
	s_or_b32 s2, vcc_lo, s2
	s_andn2_b32 exec_lo, exec_lo, s2
	s_cbranch_execz .LBB10_30
.LBB10_22:                              ; =>This Loop Header: Depth=1
                                        ;     Child Loop BB10_25 Depth 2
	v_ashrrev_i32_e32 v2, 31, v1
	s_mov_b32 s3, 0
                                        ; implicit-def: $sgpr4
	v_lshlrev_b64 v[2:3], 2, v[1:2]
	v_add_co_u32 v2, vcc_lo, s14, v2
	v_add_co_ci_u32_e64 v3, null, s15, v3, vcc_lo
	global_load_dword v2, v[2:3], off
	s_waitcnt vmcnt(0)
	v_subrev_nc_u32_e32 v2, s19, v2
	v_mul_lo_u32 v3, 0x89, v2
	v_and_b32_e32 v3, 0x3ff, v3
	s_inst_prefetch 0x1
	s_branch .LBB10_25
	.p2align	6
.LBB10_23:                              ;   in Loop: Header=BB10_25 Depth=2
	s_or_b32 exec_lo, exec_lo, s6
	s_andn2_b32 s4, s4, exec_lo
	s_and_b32 s6, s7, exec_lo
	s_or_b32 s4, s4, s6
.LBB10_24:                              ;   in Loop: Header=BB10_25 Depth=2
	s_or_b32 exec_lo, exec_lo, s5
	s_xor_b32 s5, s4, -1
	s_and_b32 s5, exec_lo, s5
	s_or_b32 s3, s5, s3
	s_andn2_b32 exec_lo, exec_lo, s3
	s_cbranch_execz .LBB10_21
.LBB10_25:                              ;   Parent Loop BB10_22 Depth=1
                                        ; =>  This Inner Loop Header: Depth=2
	v_lshl_add_u32 v7, v3, 2, 0
	s_andn2_b32 s4, s4, exec_lo
	s_mov_b32 s5, exec_lo
	ds_read_b32 v8, v7
	s_waitcnt lgkmcnt(0)
	v_cmpx_ne_u32_e64 v8, v2
	s_cbranch_execz .LBB10_24
; %bb.26:                               ;   in Loop: Header=BB10_25 Depth=2
	s_mov_b32 s6, exec_lo
	v_cmpx_ne_u32_e64 s30, v8
	s_xor_b32 s6, exec_lo, s6
; %bb.27:                               ;   in Loop: Header=BB10_25 Depth=2
	v_add_nc_u32_e32 v3, 1, v3
                                        ; implicit-def: $vgpr7
	v_and_b32_e32 v3, 0x3ff, v3
; %bb.28:                               ;   in Loop: Header=BB10_25 Depth=2
	s_or_saveexec_b32 s6, s6
	s_mov_b32 s7, -1
	s_xor_b32 exec_lo, exec_lo, s6
	s_cbranch_execz .LBB10_23
; %bb.29:                               ;   in Loop: Header=BB10_25 Depth=2
	v_mov_b32_e32 v8, s30
	ds_cmpst_rtn_b32 v7, v7, v8, v2
	s_waitcnt lgkmcnt(0)
	v_cmp_ne_u32_e32 vcc_lo, s30, v7
	s_orn2_b32 s7, vcc_lo, exec_lo
	s_branch .LBB10_23
.LBB10_30:
	s_or_b32 exec_lo, exec_lo, s1
.LBB10_31:
	v_mbcnt_lo_u32_b32 v3, -1, 0
	v_mov_b32_e32 v1, 0
	v_lshl_add_u32 v2, v6, 2, 0
	v_cmp_lt_u32_e64 s0, 31, v0
	v_cmp_lt_u32_e64 s1, 63, v0
	v_xor_b32_e32 v3, 31, v3
	v_cmp_lt_u32_e64 s2, 0x5f, v0
	v_cmp_lt_u32_e64 s3, 0x7f, v0
	;; [unrolled: 1-line block ×4, first 2 shown]
	v_lshrrev_b32_e64 v3, v3, -1
	v_cmp_lt_u32_e64 s6, 0xdf, v0
	v_cmp_lt_u32_e64 s7, 0xff, v0
	;; [unrolled: 1-line block ×9, first 2 shown]
	v_mov_b32_e32 v6, 0
	s_waitcnt lgkmcnt(0)
	s_mov_b32 s16, 0
	v_cmp_eq_u32_e32 vcc_lo, 0x1ff, v0
	s_barrier
	buffer_gl0_inv
	s_branch .LBB10_33
.LBB10_32:                              ;   in Loop: Header=BB10_33 Depth=1
	s_or_b32 exec_lo, exec_lo, s15
	s_waitcnt lgkmcnt(0)
	s_barrier
	buffer_gl0_inv
	ds_read_b32 v7, v1 offset:4156
	v_add_co_u32 v5, s15, 0x200, v5
	s_xor_b32 s15, s15, -1
	v_add_nc_u32_e32 v4, 0x800, v4
	s_and_b32 s15, exec_lo, s15
	s_or_b32 s16, s15, s16
	s_waitcnt lgkmcnt(0)
	v_add_nc_u32_e32 v6, v7, v6
	s_andn2_b32 exec_lo, exec_lo, s16
	s_cbranch_execz .LBB10_67
.LBB10_33:                              ; =>This Inner Loop Header: Depth=1
	ds_read_b32 v7, v4
	s_waitcnt lgkmcnt(0)
	s_barrier
	buffer_gl0_inv
	v_cmp_gt_i32_e64 s15, s30, v7
	v_and_b32_e32 v8, s15, v3
	s_bcnt1_i32_b32 s17, s15
	v_mov_b32_e32 v9, s17
	v_bcnt_u32_b32 v8, v8, 0
	ds_write_b32 v2, v9 offset:4096
	s_waitcnt lgkmcnt(0)
	s_barrier
	buffer_gl0_inv
	s_and_saveexec_b32 s17, s0
	s_cbranch_execnz .LBB10_50
; %bb.34:                               ;   in Loop: Header=BB10_33 Depth=1
	s_or_b32 exec_lo, exec_lo, s17
	s_and_saveexec_b32 s17, s1
	s_cbranch_execnz .LBB10_51
.LBB10_35:                              ;   in Loop: Header=BB10_33 Depth=1
	s_or_b32 exec_lo, exec_lo, s17
	s_and_saveexec_b32 s17, s2
	s_cbranch_execnz .LBB10_52
.LBB10_36:                              ;   in Loop: Header=BB10_33 Depth=1
	s_or_b32 exec_lo, exec_lo, s17
	s_and_saveexec_b32 s17, s3
	s_cbranch_execnz .LBB10_53
.LBB10_37:                              ;   in Loop: Header=BB10_33 Depth=1
	s_or_b32 exec_lo, exec_lo, s17
	s_and_saveexec_b32 s17, s4
	s_cbranch_execnz .LBB10_54
.LBB10_38:                              ;   in Loop: Header=BB10_33 Depth=1
	s_or_b32 exec_lo, exec_lo, s17
	s_and_saveexec_b32 s17, s5
	s_cbranch_execnz .LBB10_55
.LBB10_39:                              ;   in Loop: Header=BB10_33 Depth=1
	s_or_b32 exec_lo, exec_lo, s17
	s_and_saveexec_b32 s17, s6
	s_cbranch_execnz .LBB10_56
.LBB10_40:                              ;   in Loop: Header=BB10_33 Depth=1
	s_or_b32 exec_lo, exec_lo, s17
	s_and_saveexec_b32 s17, s7
	s_cbranch_execnz .LBB10_57
.LBB10_41:                              ;   in Loop: Header=BB10_33 Depth=1
	s_or_b32 exec_lo, exec_lo, s17
	s_and_saveexec_b32 s17, s8
	s_cbranch_execnz .LBB10_58
.LBB10_42:                              ;   in Loop: Header=BB10_33 Depth=1
	s_or_b32 exec_lo, exec_lo, s17
	s_and_saveexec_b32 s17, s9
	s_cbranch_execnz .LBB10_59
.LBB10_43:                              ;   in Loop: Header=BB10_33 Depth=1
	s_or_b32 exec_lo, exec_lo, s17
	s_and_saveexec_b32 s17, s10
	s_cbranch_execnz .LBB10_60
.LBB10_44:                              ;   in Loop: Header=BB10_33 Depth=1
	s_or_b32 exec_lo, exec_lo, s17
	s_and_saveexec_b32 s17, s11
	s_cbranch_execnz .LBB10_61
.LBB10_45:                              ;   in Loop: Header=BB10_33 Depth=1
	s_or_b32 exec_lo, exec_lo, s17
	s_and_saveexec_b32 s17, s12
	s_cbranch_execnz .LBB10_62
.LBB10_46:                              ;   in Loop: Header=BB10_33 Depth=1
	s_or_b32 exec_lo, exec_lo, s17
	s_and_saveexec_b32 s17, s13
	s_cbranch_execnz .LBB10_63
.LBB10_47:                              ;   in Loop: Header=BB10_33 Depth=1
	s_or_b32 exec_lo, exec_lo, s17
	s_and_saveexec_b32 s17, s14
	s_cbranch_execnz .LBB10_64
.LBB10_48:                              ;   in Loop: Header=BB10_33 Depth=1
	s_or_b32 exec_lo, exec_lo, s17
	s_and_saveexec_b32 s17, s15
	s_cbranch_execnz .LBB10_65
.LBB10_49:                              ;   in Loop: Header=BB10_33 Depth=1
	s_or_b32 exec_lo, exec_lo, s17
	s_and_saveexec_b32 s15, vcc_lo
	s_cbranch_execz .LBB10_32
	s_branch .LBB10_66
.LBB10_50:                              ;   in Loop: Header=BB10_33 Depth=1
	ds_read_b32 v9, v1 offset:4096
	s_waitcnt lgkmcnt(0)
	v_add_nc_u32_e32 v8, v9, v8
	s_or_b32 exec_lo, exec_lo, s17
	s_and_saveexec_b32 s17, s1
	s_cbranch_execz .LBB10_35
.LBB10_51:                              ;   in Loop: Header=BB10_33 Depth=1
	ds_read_b32 v9, v1 offset:4100
	s_waitcnt lgkmcnt(0)
	v_add_nc_u32_e32 v8, v9, v8
	s_or_b32 exec_lo, exec_lo, s17
	s_and_saveexec_b32 s17, s2
	s_cbranch_execz .LBB10_36
.LBB10_52:                              ;   in Loop: Header=BB10_33 Depth=1
	ds_read_b32 v9, v1 offset:4104
	s_waitcnt lgkmcnt(0)
	v_add_nc_u32_e32 v8, v9, v8
	s_or_b32 exec_lo, exec_lo, s17
	s_and_saveexec_b32 s17, s3
	s_cbranch_execz .LBB10_37
.LBB10_53:                              ;   in Loop: Header=BB10_33 Depth=1
	ds_read_b32 v9, v1 offset:4108
	s_waitcnt lgkmcnt(0)
	v_add_nc_u32_e32 v8, v9, v8
	s_or_b32 exec_lo, exec_lo, s17
	s_and_saveexec_b32 s17, s4
	s_cbranch_execz .LBB10_38
.LBB10_54:                              ;   in Loop: Header=BB10_33 Depth=1
	ds_read_b32 v9, v1 offset:4112
	s_waitcnt lgkmcnt(0)
	v_add_nc_u32_e32 v8, v9, v8
	s_or_b32 exec_lo, exec_lo, s17
	s_and_saveexec_b32 s17, s5
	s_cbranch_execz .LBB10_39
.LBB10_55:                              ;   in Loop: Header=BB10_33 Depth=1
	ds_read_b32 v9, v1 offset:4116
	s_waitcnt lgkmcnt(0)
	v_add_nc_u32_e32 v8, v9, v8
	s_or_b32 exec_lo, exec_lo, s17
	s_and_saveexec_b32 s17, s6
	s_cbranch_execz .LBB10_40
.LBB10_56:                              ;   in Loop: Header=BB10_33 Depth=1
	ds_read_b32 v9, v1 offset:4120
	s_waitcnt lgkmcnt(0)
	v_add_nc_u32_e32 v8, v9, v8
	s_or_b32 exec_lo, exec_lo, s17
	s_and_saveexec_b32 s17, s7
	s_cbranch_execz .LBB10_41
.LBB10_57:                              ;   in Loop: Header=BB10_33 Depth=1
	ds_read_b32 v9, v1 offset:4124
	s_waitcnt lgkmcnt(0)
	v_add_nc_u32_e32 v8, v9, v8
	s_or_b32 exec_lo, exec_lo, s17
	s_and_saveexec_b32 s17, s8
	s_cbranch_execz .LBB10_42
.LBB10_58:                              ;   in Loop: Header=BB10_33 Depth=1
	ds_read_b32 v9, v1 offset:4128
	s_waitcnt lgkmcnt(0)
	v_add_nc_u32_e32 v8, v9, v8
	s_or_b32 exec_lo, exec_lo, s17
	s_and_saveexec_b32 s17, s9
	s_cbranch_execz .LBB10_43
.LBB10_59:                              ;   in Loop: Header=BB10_33 Depth=1
	ds_read_b32 v9, v1 offset:4132
	s_waitcnt lgkmcnt(0)
	v_add_nc_u32_e32 v8, v9, v8
	s_or_b32 exec_lo, exec_lo, s17
	s_and_saveexec_b32 s17, s10
	s_cbranch_execz .LBB10_44
.LBB10_60:                              ;   in Loop: Header=BB10_33 Depth=1
	ds_read_b32 v9, v1 offset:4136
	s_waitcnt lgkmcnt(0)
	v_add_nc_u32_e32 v8, v9, v8
	s_or_b32 exec_lo, exec_lo, s17
	s_and_saveexec_b32 s17, s11
	s_cbranch_execz .LBB10_45
.LBB10_61:                              ;   in Loop: Header=BB10_33 Depth=1
	ds_read_b32 v9, v1 offset:4140
	s_waitcnt lgkmcnt(0)
	v_add_nc_u32_e32 v8, v9, v8
	s_or_b32 exec_lo, exec_lo, s17
	s_and_saveexec_b32 s17, s12
	s_cbranch_execz .LBB10_46
.LBB10_62:                              ;   in Loop: Header=BB10_33 Depth=1
	ds_read_b32 v9, v1 offset:4144
	s_waitcnt lgkmcnt(0)
	v_add_nc_u32_e32 v8, v9, v8
	s_or_b32 exec_lo, exec_lo, s17
	s_and_saveexec_b32 s17, s13
	s_cbranch_execz .LBB10_47
.LBB10_63:                              ;   in Loop: Header=BB10_33 Depth=1
	ds_read_b32 v9, v1 offset:4148
	s_waitcnt lgkmcnt(0)
	v_add_nc_u32_e32 v8, v9, v8
	s_or_b32 exec_lo, exec_lo, s17
	s_and_saveexec_b32 s17, s14
	s_cbranch_execz .LBB10_48
.LBB10_64:                              ;   in Loop: Header=BB10_33 Depth=1
	ds_read_b32 v9, v1 offset:4152
	s_waitcnt lgkmcnt(0)
	v_add_nc_u32_e32 v8, v9, v8
	s_or_b32 exec_lo, exec_lo, s17
	s_and_saveexec_b32 s17, s15
	s_cbranch_execz .LBB10_49
.LBB10_65:                              ;   in Loop: Header=BB10_33 Depth=1
	v_lshlrev_b32_e32 v9, 2, v6
	v_lshlrev_b32_e32 v10, 2, v8
	v_add_nc_u32_e32 v9, 0, v9
	v_add3_u32 v9, v9, v10, -4
	ds_write_b32 v9, v7
	s_or_b32 exec_lo, exec_lo, s17
	s_and_saveexec_b32 s15, vcc_lo
	s_cbranch_execz .LBB10_32
.LBB10_66:                              ;   in Loop: Header=BB10_33 Depth=1
	ds_write_b32 v1, v8 offset:4156
	s_branch .LBB10_32
.LBB10_67:
	s_or_b32 exec_lo, exec_lo, s16
	s_ashr_i32 s29, s28, 31
	s_mov_b32 s3, exec_lo
	s_lshl_b64 s[0:1], s[28:29], 2
	s_add_u32 s0, s24, s0
	s_addc_u32 s1, s25, s1
	s_load_dwordx2 s[0:1], s[0:1], 0x0
	s_waitcnt lgkmcnt(0)
	s_sub_i32 s2, s1, s0
	v_cmpx_gt_i32_e64 s2, v0
	s_cbranch_execz .LBB10_77
; %bb.68:
	s_sub_i32 s3, s0, s18
	s_sub_i32 s0, s0, s1
	s_and_b32 s1, s2, 7
	s_cmp_lt_u32 s0, -7
	s_mov_b32 s7, 0
	s_cselect_b32 s4, -1, 0
	s_and_b32 s5, s2, -8
	s_cmp_lg_u32 s1, 0
	s_cselect_b32 s6, -1, 0
	s_branch .LBB10_70
.LBB10_69:                              ;   in Loop: Header=BB10_70 Depth=1
	v_ashrrev_i32_e32 v2, 31, v1
	v_add_nc_u32_e32 v0, 0x200, v0
	s_waitcnt lgkmcnt(0)
	v_add_nc_u32_e32 v3, s18, v3
	v_lshlrev_b64 v[1:2], 2, v[1:2]
	v_cmp_le_i32_e32 vcc_lo, s2, v0
	s_or_b32 s7, vcc_lo, s7
	v_add_co_u32 v1, s0, s26, v1
	v_add_co_ci_u32_e64 v2, null, s27, v2, s0
	global_store_dword v[1:2], v3, off
	s_andn2_b32 exec_lo, exec_lo, s7
	s_cbranch_execz .LBB10_77
.LBB10_70:                              ; =>This Loop Header: Depth=1
                                        ;     Child Loop BB10_72 Depth 2
                                        ;     Child Loop BB10_76 Depth 2
	v_lshl_add_u32 v1, v0, 2, 0
	s_andn2_b32 vcc_lo, exec_lo, s4
	s_mov_b32 s0, 0
	ds_read_b32 v3, v1
	v_mov_b32_e32 v1, s3
	s_cbranch_vccnz .LBB10_74
; %bb.71:                               ;   in Loop: Header=BB10_70 Depth=1
	v_mov_b32_e32 v1, s3
	s_mov_b32 s8, 0
	s_inst_prefetch 0x1
	.p2align	6
.LBB10_72:                              ;   Parent Loop BB10_70 Depth=1
                                        ; =>  This Inner Loop Header: Depth=2
	v_mov_b32_e32 v2, s8
	s_add_i32 s0, s0, 8
	s_add_i32 s8, s8, 32
	s_cmp_eq_u32 s5, s0
	ds_read2_b32 v[4:5], v2 offset1:1
	ds_read2_b32 v[6:7], v2 offset0:2 offset1:3
	ds_read2_b32 v[8:9], v2 offset0:4 offset1:5
	;; [unrolled: 1-line block ×3, first 2 shown]
	s_waitcnt lgkmcnt(3)
	v_cmp_gt_i32_e32 vcc_lo, v3, v4
	v_cndmask_b32_e64 v2, 0, 1, vcc_lo
	s_waitcnt lgkmcnt(2)
	v_cmp_gt_i32_e32 vcc_lo, v3, v6
	v_cndmask_b32_e64 v4, 0, 1, vcc_lo
	v_cmp_gt_i32_e32 vcc_lo, v3, v5
	v_add_co_ci_u32_e64 v1, null, v1, v2, vcc_lo
	s_waitcnt lgkmcnt(1)
	v_cmp_gt_i32_e32 vcc_lo, v3, v8
	v_cndmask_b32_e64 v2, 0, 1, vcc_lo
	v_cmp_gt_i32_e32 vcc_lo, v3, v7
	v_add_co_ci_u32_e64 v1, null, v1, v4, vcc_lo
	;; [unrolled: 5-line block ×3, first 2 shown]
	v_cmp_gt_i32_e32 vcc_lo, v3, v11
	v_add_co_ci_u32_e64 v1, null, v1, v4, vcc_lo
	s_cbranch_scc0 .LBB10_72
; %bb.73:                               ;   in Loop: Header=BB10_70 Depth=1
	s_inst_prefetch 0x2
	s_mov_b32 s0, s5
.LBB10_74:                              ;   in Loop: Header=BB10_70 Depth=1
	s_andn2_b32 vcc_lo, exec_lo, s6
	s_cbranch_vccnz .LBB10_69
; %bb.75:                               ;   in Loop: Header=BB10_70 Depth=1
	s_lshl_b32 s0, s0, 2
	s_mov_b32 s8, s1
	s_add_i32 s0, s0, 0
.LBB10_76:                              ;   Parent Loop BB10_70 Depth=1
                                        ; =>  This Inner Loop Header: Depth=2
	v_mov_b32_e32 v2, s0
	s_add_i32 s8, s8, -1
	s_add_i32 s0, s0, 4
	s_cmp_lg_u32 s8, 0
	ds_read_b32 v2, v2
	s_waitcnt lgkmcnt(0)
	v_cmp_gt_i32_e32 vcc_lo, v3, v2
	v_add_co_ci_u32_e64 v1, null, 0, v1, vcc_lo
	s_cbranch_scc1 .LBB10_76
	s_branch .LBB10_69
.LBB10_77:
	s_endpgm
	.section	.rodata,"a",@progbits
	.p2align	6, 0x0
	.amdhsa_kernel _ZN9rocsparseL35csrgemm_symbolic_fill_block_per_rowILj512ELj32ELj1024ELj137ELj32EiiEEvT5_PKS1_S3_PKT4_S3_S6_S3_S6_S3_S6_PS1_21rocsparse_index_base_S8_S8_S8_bb
		.amdhsa_group_segment_fixed_size 0
		.amdhsa_private_segment_fixed_size 0
		.amdhsa_kernarg_size 108
		.amdhsa_user_sgpr_count 6
		.amdhsa_user_sgpr_private_segment_buffer 1
		.amdhsa_user_sgpr_dispatch_ptr 0
		.amdhsa_user_sgpr_queue_ptr 0
		.amdhsa_user_sgpr_kernarg_segment_ptr 1
		.amdhsa_user_sgpr_dispatch_id 0
		.amdhsa_user_sgpr_flat_scratch_init 0
		.amdhsa_user_sgpr_private_segment_size 0
		.amdhsa_wavefront_size32 1
		.amdhsa_uses_dynamic_stack 0
		.amdhsa_system_sgpr_private_segment_wavefront_offset 0
		.amdhsa_system_sgpr_workgroup_id_x 1
		.amdhsa_system_sgpr_workgroup_id_y 0
		.amdhsa_system_sgpr_workgroup_id_z 0
		.amdhsa_system_sgpr_workgroup_info 0
		.amdhsa_system_vgpr_workitem_id 0
		.amdhsa_next_free_vgpr 12
		.amdhsa_next_free_sgpr 31
		.amdhsa_reserve_vcc 1
		.amdhsa_reserve_flat_scratch 0
		.amdhsa_float_round_mode_32 0
		.amdhsa_float_round_mode_16_64 0
		.amdhsa_float_denorm_mode_32 3
		.amdhsa_float_denorm_mode_16_64 3
		.amdhsa_dx10_clamp 1
		.amdhsa_ieee_mode 1
		.amdhsa_fp16_overflow 0
		.amdhsa_workgroup_processor_mode 1
		.amdhsa_memory_ordered 1
		.amdhsa_forward_progress 1
		.amdhsa_shared_vgpr_count 0
		.amdhsa_exception_fp_ieee_invalid_op 0
		.amdhsa_exception_fp_denorm_src 0
		.amdhsa_exception_fp_ieee_div_zero 0
		.amdhsa_exception_fp_ieee_overflow 0
		.amdhsa_exception_fp_ieee_underflow 0
		.amdhsa_exception_fp_ieee_inexact 0
		.amdhsa_exception_int_div_zero 0
	.end_amdhsa_kernel
	.section	.text._ZN9rocsparseL35csrgemm_symbolic_fill_block_per_rowILj512ELj32ELj1024ELj137ELj32EiiEEvT5_PKS1_S3_PKT4_S3_S6_S3_S6_S3_S6_PS1_21rocsparse_index_base_S8_S8_S8_bb,"axG",@progbits,_ZN9rocsparseL35csrgemm_symbolic_fill_block_per_rowILj512ELj32ELj1024ELj137ELj32EiiEEvT5_PKS1_S3_PKT4_S3_S6_S3_S6_S3_S6_PS1_21rocsparse_index_base_S8_S8_S8_bb,comdat
.Lfunc_end10:
	.size	_ZN9rocsparseL35csrgemm_symbolic_fill_block_per_rowILj512ELj32ELj1024ELj137ELj32EiiEEvT5_PKS1_S3_PKT4_S3_S6_S3_S6_S3_S6_PS1_21rocsparse_index_base_S8_S8_S8_bb, .Lfunc_end10-_ZN9rocsparseL35csrgemm_symbolic_fill_block_per_rowILj512ELj32ELj1024ELj137ELj32EiiEEvT5_PKS1_S3_PKT4_S3_S6_S3_S6_S3_S6_PS1_21rocsparse_index_base_S8_S8_S8_bb
                                        ; -- End function
	.set _ZN9rocsparseL35csrgemm_symbolic_fill_block_per_rowILj512ELj32ELj1024ELj137ELj32EiiEEvT5_PKS1_S3_PKT4_S3_S6_S3_S6_S3_S6_PS1_21rocsparse_index_base_S8_S8_S8_bb.num_vgpr, 12
	.set _ZN9rocsparseL35csrgemm_symbolic_fill_block_per_rowILj512ELj32ELj1024ELj137ELj32EiiEEvT5_PKS1_S3_PKT4_S3_S6_S3_S6_S3_S6_PS1_21rocsparse_index_base_S8_S8_S8_bb.num_agpr, 0
	.set _ZN9rocsparseL35csrgemm_symbolic_fill_block_per_rowILj512ELj32ELj1024ELj137ELj32EiiEEvT5_PKS1_S3_PKT4_S3_S6_S3_S6_S3_S6_PS1_21rocsparse_index_base_S8_S8_S8_bb.numbered_sgpr, 31
	.set _ZN9rocsparseL35csrgemm_symbolic_fill_block_per_rowILj512ELj32ELj1024ELj137ELj32EiiEEvT5_PKS1_S3_PKT4_S3_S6_S3_S6_S3_S6_PS1_21rocsparse_index_base_S8_S8_S8_bb.num_named_barrier, 0
	.set _ZN9rocsparseL35csrgemm_symbolic_fill_block_per_rowILj512ELj32ELj1024ELj137ELj32EiiEEvT5_PKS1_S3_PKT4_S3_S6_S3_S6_S3_S6_PS1_21rocsparse_index_base_S8_S8_S8_bb.private_seg_size, 0
	.set _ZN9rocsparseL35csrgemm_symbolic_fill_block_per_rowILj512ELj32ELj1024ELj137ELj32EiiEEvT5_PKS1_S3_PKT4_S3_S6_S3_S6_S3_S6_PS1_21rocsparse_index_base_S8_S8_S8_bb.uses_vcc, 1
	.set _ZN9rocsparseL35csrgemm_symbolic_fill_block_per_rowILj512ELj32ELj1024ELj137ELj32EiiEEvT5_PKS1_S3_PKT4_S3_S6_S3_S6_S3_S6_PS1_21rocsparse_index_base_S8_S8_S8_bb.uses_flat_scratch, 0
	.set _ZN9rocsparseL35csrgemm_symbolic_fill_block_per_rowILj512ELj32ELj1024ELj137ELj32EiiEEvT5_PKS1_S3_PKT4_S3_S6_S3_S6_S3_S6_PS1_21rocsparse_index_base_S8_S8_S8_bb.has_dyn_sized_stack, 0
	.set _ZN9rocsparseL35csrgemm_symbolic_fill_block_per_rowILj512ELj32ELj1024ELj137ELj32EiiEEvT5_PKS1_S3_PKT4_S3_S6_S3_S6_S3_S6_PS1_21rocsparse_index_base_S8_S8_S8_bb.has_recursion, 0
	.set _ZN9rocsparseL35csrgemm_symbolic_fill_block_per_rowILj512ELj32ELj1024ELj137ELj32EiiEEvT5_PKS1_S3_PKT4_S3_S6_S3_S6_S3_S6_PS1_21rocsparse_index_base_S8_S8_S8_bb.has_indirect_call, 0
	.section	.AMDGPU.csdata,"",@progbits
; Kernel info:
; codeLenInByte = 2676
; TotalNumSgprs: 33
; NumVgprs: 12
; ScratchSize: 0
; MemoryBound: 0
; FloatMode: 240
; IeeeMode: 1
; LDSByteSize: 0 bytes/workgroup (compile time only)
; SGPRBlocks: 0
; VGPRBlocks: 1
; NumSGPRsForWavesPerEU: 33
; NumVGPRsForWavesPerEU: 12
; Occupancy: 16
; WaveLimiterHint : 1
; COMPUTE_PGM_RSRC2:SCRATCH_EN: 0
; COMPUTE_PGM_RSRC2:USER_SGPR: 6
; COMPUTE_PGM_RSRC2:TRAP_HANDLER: 0
; COMPUTE_PGM_RSRC2:TGID_X_EN: 1
; COMPUTE_PGM_RSRC2:TGID_Y_EN: 0
; COMPUTE_PGM_RSRC2:TGID_Z_EN: 0
; COMPUTE_PGM_RSRC2:TIDIG_COMP_CNT: 0
	.section	.text._ZN9rocsparseL35csrgemm_symbolic_fill_block_per_rowILj512ELj32ELj1024ELj137ELj64EiiEEvT5_PKS1_S3_PKT4_S3_S6_S3_S6_S3_S6_PS1_21rocsparse_index_base_S8_S8_S8_bb,"axG",@progbits,_ZN9rocsparseL35csrgemm_symbolic_fill_block_per_rowILj512ELj32ELj1024ELj137ELj64EiiEEvT5_PKS1_S3_PKT4_S3_S6_S3_S6_S3_S6_PS1_21rocsparse_index_base_S8_S8_S8_bb,comdat
	.globl	_ZN9rocsparseL35csrgemm_symbolic_fill_block_per_rowILj512ELj32ELj1024ELj137ELj64EiiEEvT5_PKS1_S3_PKT4_S3_S6_S3_S6_S3_S6_PS1_21rocsparse_index_base_S8_S8_S8_bb ; -- Begin function _ZN9rocsparseL35csrgemm_symbolic_fill_block_per_rowILj512ELj32ELj1024ELj137ELj64EiiEEvT5_PKS1_S3_PKT4_S3_S6_S3_S6_S3_S6_PS1_21rocsparse_index_base_S8_S8_S8_bb
	.p2align	8
	.type	_ZN9rocsparseL35csrgemm_symbolic_fill_block_per_rowILj512ELj32ELj1024ELj137ELj64EiiEEvT5_PKS1_S3_PKT4_S3_S6_S3_S6_S3_S6_PS1_21rocsparse_index_base_S8_S8_S8_bb,@function
_ZN9rocsparseL35csrgemm_symbolic_fill_block_per_rowILj512ELj32ELj1024ELj137ELj64EiiEEvT5_PKS1_S3_PKT4_S3_S6_S3_S6_S3_S6_PS1_21rocsparse_index_base_S8_S8_S8_bb: ; @_ZN9rocsparseL35csrgemm_symbolic_fill_block_per_rowILj512ELj32ELj1024ELj137ELj64EiiEEvT5_PKS1_S3_PKT4_S3_S6_S3_S6_S3_S6_PS1_21rocsparse_index_base_S8_S8_S8_bb
; %bb.0:
	s_clause 0x3
	s_load_dword s30, s[4:5], 0x0
	s_load_dwordx4 s[24:27], s[4:5], 0x48
	s_load_dwordx8 s[8:15], s[4:5], 0x28
	s_load_dwordx8 s[16:23], s[4:5], 0x8
	v_lshl_add_u32 v4, v0, 2, 0
	v_or_b32_e32 v5, 0xfffffe00, v0
	s_mov_b32 s0, 0
	v_mov_b32_e32 v1, v4
	v_mov_b32_e32 v3, v5
	s_waitcnt lgkmcnt(0)
	v_mov_b32_e32 v2, s30
.LBB11_1:                               ; =>This Inner Loop Header: Depth=1
	v_add_co_u32 v3, s1, 0x200, v3
	s_xor_b32 s1, s1, -1
	ds_write_b32 v1, v2
	v_add_nc_u32_e32 v1, 0x800, v1
	s_and_b32 s1, exec_lo, s1
	s_or_b32 s0, s1, s0
	s_andn2_b32 exec_lo, exec_lo, s0
	s_cbranch_execnz .LBB11_1
; %bb.2:
	s_or_b32 exec_lo, exec_lo, s0
	s_load_dword s0, s[4:5], 0x68
	s_waitcnt lgkmcnt(0)
	s_barrier
	buffer_gl0_inv
	s_load_dword s1, s[16:17], 0x0
	s_mov_b32 s3, 0
	s_bitcmp1_b32 s0, 0
	s_cselect_b32 s7, -1, 0
	s_waitcnt lgkmcnt(0)
	s_add_i32 s2, s1, s6
	s_lshl_b64 s[2:3], s[2:3], 2
	s_add_u32 s2, s18, s2
	s_addc_u32 s3, s19, s3
	s_load_dwordx4 s[16:19], s[4:5], 0x58
	s_load_dword s28, s[2:3], 0x0
	s_and_b32 vcc_lo, exec_lo, s7
	s_cbranch_vccz .LBB11_18
; %bb.3:
	s_waitcnt lgkmcnt(0)
	s_ashr_i32 s29, s28, 31
	v_lshrrev_b32_e32 v1, 5, v0
	s_lshl_b64 s[2:3], s[28:29], 2
	s_add_u32 s2, s20, s2
	s_addc_u32 s3, s21, s3
	v_subrev_nc_u32_e32 v1, s16, v1
	s_load_dwordx2 s[2:3], s[2:3], 0x0
	s_waitcnt lgkmcnt(0)
	v_add_nc_u32_e32 v1, s2, v1
	s_sub_i32 s1, s3, s16
	s_mov_b32 s2, exec_lo
	v_cmpx_gt_i32_e64 s1, v1
	s_cbranch_execz .LBB11_17
; %bb.4:
	v_and_b32_e32 v2, 31, v0
	s_mov_b32 s3, 0
	v_subrev_nc_u32_e32 v6, s17, v2
	s_branch .LBB11_6
.LBB11_5:                               ;   in Loop: Header=BB11_6 Depth=1
	s_or_b32 exec_lo, exec_lo, s4
	v_add_nc_u32_e32 v1, 16, v1
	v_cmp_le_i32_e32 vcc_lo, s1, v1
	s_or_b32 s3, vcc_lo, s3
	s_andn2_b32 exec_lo, exec_lo, s3
	s_cbranch_execz .LBB11_17
.LBB11_6:                               ; =>This Loop Header: Depth=1
                                        ;     Child Loop BB11_9 Depth 2
                                        ;       Child Loop BB11_12 Depth 3
	v_ashrrev_i32_e32 v2, 31, v1
	s_mov_b32 s4, exec_lo
	v_lshlrev_b64 v[2:3], 2, v[1:2]
	v_add_co_u32 v2, vcc_lo, s22, v2
	v_add_co_ci_u32_e64 v3, null, s23, v3, vcc_lo
	global_load_dword v2, v[2:3], off
	s_waitcnt vmcnt(0)
	v_subrev_nc_u32_e32 v2, s16, v2
	v_ashrrev_i32_e32 v3, 31, v2
	v_lshlrev_b64 v[2:3], 2, v[2:3]
	v_add_co_u32 v2, vcc_lo, s8, v2
	v_add_co_ci_u32_e64 v3, null, s9, v3, vcc_lo
	global_load_dwordx2 v[2:3], v[2:3], off
	s_waitcnt vmcnt(0)
	v_subrev_nc_u32_e32 v7, s17, v3
	v_add_nc_u32_e32 v2, v2, v6
	v_cmpx_lt_i32_e64 v2, v7
	s_cbranch_execz .LBB11_5
; %bb.7:                                ;   in Loop: Header=BB11_6 Depth=1
	s_mov_b32 s5, 0
	s_branch .LBB11_9
.LBB11_8:                               ;   in Loop: Header=BB11_9 Depth=2
	s_inst_prefetch 0x2
	s_or_b32 exec_lo, exec_lo, s6
	v_add_nc_u32_e32 v2, 32, v2
	v_cmp_ge_i32_e32 vcc_lo, v2, v7
	s_or_b32 s5, vcc_lo, s5
	s_andn2_b32 exec_lo, exec_lo, s5
	s_cbranch_execz .LBB11_5
.LBB11_9:                               ;   Parent Loop BB11_6 Depth=1
                                        ; =>  This Loop Header: Depth=2
                                        ;       Child Loop BB11_12 Depth 3
	v_ashrrev_i32_e32 v3, 31, v2
	s_mov_b32 s6, 0
                                        ; implicit-def: $sgpr7
	v_lshlrev_b64 v[8:9], 2, v[2:3]
	v_add_co_u32 v8, vcc_lo, s10, v8
	v_add_co_ci_u32_e64 v9, null, s11, v9, vcc_lo
	global_load_dword v3, v[8:9], off
	s_waitcnt vmcnt(0)
	v_subrev_nc_u32_e32 v3, s17, v3
	v_mul_lo_u32 v8, 0x89, v3
	v_and_b32_e32 v8, 0x3ff, v8
	s_inst_prefetch 0x1
	s_branch .LBB11_12
	.p2align	6
.LBB11_10:                              ;   in Loop: Header=BB11_12 Depth=3
	s_or_b32 exec_lo, exec_lo, s21
	s_andn2_b32 s7, s7, exec_lo
	s_and_b32 s21, s29, exec_lo
	s_or_b32 s7, s7, s21
.LBB11_11:                              ;   in Loop: Header=BB11_12 Depth=3
	s_or_b32 exec_lo, exec_lo, s20
	s_xor_b32 s20, s7, -1
	s_and_b32 s20, exec_lo, s20
	s_or_b32 s6, s20, s6
	s_andn2_b32 exec_lo, exec_lo, s6
	s_cbranch_execz .LBB11_8
.LBB11_12:                              ;   Parent Loop BB11_6 Depth=1
                                        ;     Parent Loop BB11_9 Depth=2
                                        ; =>    This Inner Loop Header: Depth=3
	v_lshl_add_u32 v9, v8, 2, 0
	s_andn2_b32 s7, s7, exec_lo
	s_mov_b32 s20, exec_lo
	ds_read_b32 v10, v9
	s_waitcnt lgkmcnt(0)
	v_cmpx_ne_u32_e64 v10, v3
	s_cbranch_execz .LBB11_11
; %bb.13:                               ;   in Loop: Header=BB11_12 Depth=3
	s_mov_b32 s21, exec_lo
	v_cmpx_ne_u32_e64 s30, v10
	s_xor_b32 s21, exec_lo, s21
; %bb.14:                               ;   in Loop: Header=BB11_12 Depth=3
	v_add_nc_u32_e32 v8, 1, v8
                                        ; implicit-def: $vgpr9
	v_and_b32_e32 v8, 0x3ff, v8
; %bb.15:                               ;   in Loop: Header=BB11_12 Depth=3
	s_or_saveexec_b32 s21, s21
	s_mov_b32 s29, -1
	s_xor_b32 exec_lo, exec_lo, s21
	s_cbranch_execz .LBB11_10
; %bb.16:                               ;   in Loop: Header=BB11_12 Depth=3
	v_mov_b32_e32 v10, s30
	ds_cmpst_rtn_b32 v9, v9, v10, v3
	s_waitcnt lgkmcnt(0)
	v_cmp_ne_u32_e32 vcc_lo, s30, v9
	s_orn2_b32 s29, vcc_lo, exec_lo
	s_branch .LBB11_10
.LBB11_17:
	s_or_b32 exec_lo, exec_lo, s2
.LBB11_18:
	s_bfe_u32 s0, s0, 0x10008
	s_cmp_eq_u32 s0, 0
	s_cbranch_scc1 .LBB11_31
; %bb.19:
	s_waitcnt lgkmcnt(0)
	s_ashr_i32 s29, s28, 31
	v_subrev_nc_u32_e32 v1, s19, v0
	s_lshl_b64 s[0:1], s[28:29], 2
	s_add_u32 s0, s12, s0
	s_addc_u32 s1, s13, s1
	s_load_dwordx2 s[0:1], s[0:1], 0x0
	s_waitcnt lgkmcnt(0)
	v_add_nc_u32_e32 v1, s0, v1
	s_sub_i32 s0, s1, s19
	s_mov_b32 s1, exec_lo
	v_cmpx_gt_i32_e64 s0, v1
	s_cbranch_execz .LBB11_30
; %bb.20:
	s_mov_b32 s2, 0
	s_branch .LBB11_22
.LBB11_21:                              ;   in Loop: Header=BB11_22 Depth=1
	s_inst_prefetch 0x2
	s_or_b32 exec_lo, exec_lo, s3
	v_add_nc_u32_e32 v1, 0x200, v1
	v_cmp_le_i32_e32 vcc_lo, s0, v1
	s_or_b32 s2, vcc_lo, s2
	s_andn2_b32 exec_lo, exec_lo, s2
	s_cbranch_execz .LBB11_30
.LBB11_22:                              ; =>This Loop Header: Depth=1
                                        ;     Child Loop BB11_25 Depth 2
	v_ashrrev_i32_e32 v2, 31, v1
	s_mov_b32 s3, 0
                                        ; implicit-def: $sgpr4
	v_lshlrev_b64 v[2:3], 2, v[1:2]
	v_add_co_u32 v2, vcc_lo, s14, v2
	v_add_co_ci_u32_e64 v3, null, s15, v3, vcc_lo
	global_load_dword v2, v[2:3], off
	s_waitcnt vmcnt(0)
	v_subrev_nc_u32_e32 v2, s19, v2
	v_mul_lo_u32 v3, 0x89, v2
	v_and_b32_e32 v3, 0x3ff, v3
	s_inst_prefetch 0x1
	s_branch .LBB11_25
	.p2align	6
.LBB11_23:                              ;   in Loop: Header=BB11_25 Depth=2
	s_or_b32 exec_lo, exec_lo, s6
	s_andn2_b32 s4, s4, exec_lo
	s_and_b32 s6, s7, exec_lo
	s_or_b32 s4, s4, s6
.LBB11_24:                              ;   in Loop: Header=BB11_25 Depth=2
	s_or_b32 exec_lo, exec_lo, s5
	s_xor_b32 s5, s4, -1
	s_and_b32 s5, exec_lo, s5
	s_or_b32 s3, s5, s3
	s_andn2_b32 exec_lo, exec_lo, s3
	s_cbranch_execz .LBB11_21
.LBB11_25:                              ;   Parent Loop BB11_22 Depth=1
                                        ; =>  This Inner Loop Header: Depth=2
	v_lshl_add_u32 v6, v3, 2, 0
	s_andn2_b32 s4, s4, exec_lo
	s_mov_b32 s5, exec_lo
	ds_read_b32 v7, v6
	s_waitcnt lgkmcnt(0)
	v_cmpx_ne_u32_e64 v7, v2
	s_cbranch_execz .LBB11_24
; %bb.26:                               ;   in Loop: Header=BB11_25 Depth=2
	s_mov_b32 s6, exec_lo
	v_cmpx_ne_u32_e64 s30, v7
	s_xor_b32 s6, exec_lo, s6
; %bb.27:                               ;   in Loop: Header=BB11_25 Depth=2
	v_add_nc_u32_e32 v3, 1, v3
                                        ; implicit-def: $vgpr6
	v_and_b32_e32 v3, 0x3ff, v3
; %bb.28:                               ;   in Loop: Header=BB11_25 Depth=2
	s_or_saveexec_b32 s6, s6
	s_mov_b32 s7, -1
	s_xor_b32 exec_lo, exec_lo, s6
	s_cbranch_execz .LBB11_23
; %bb.29:                               ;   in Loop: Header=BB11_25 Depth=2
	v_mov_b32_e32 v7, s30
	ds_cmpst_rtn_b32 v6, v6, v7, v2
	s_waitcnt lgkmcnt(0)
	v_cmp_ne_u32_e32 vcc_lo, s30, v6
	s_orn2_b32 s7, vcc_lo, exec_lo
	s_branch .LBB11_23
.LBB11_30:
	s_or_b32 exec_lo, exec_lo, s1
.LBB11_31:
	v_mbcnt_lo_u32_b32 v2, -1, 0
	v_lshrrev_b32_e32 v3, 4, v0
	v_mov_b32_e32 v1, 0
	v_cmp_lt_u32_e64 s0, 63, v0
	v_cmp_lt_u32_e64 s1, 0x7f, v0
	v_xor_b32_e32 v2, 31, v2
	v_and_b32_e32 v3, 28, v3
	v_cmp_lt_u32_e64 s2, 0xbf, v0
	v_cmp_lt_u32_e64 s3, 0xff, v0
	;; [unrolled: 1-line block ×3, first 2 shown]
	v_lshrrev_b32_e64 v2, v2, -1
	v_add_nc_u32_e32 v3, 0, v3
	v_cmp_lt_u32_e64 s5, 0x17f, v0
	v_cmp_lt_u32_e64 s6, 0x1bf, v0
	v_mov_b32_e32 v6, 0
	s_mov_b32 s8, 0
	v_cmp_eq_u32_e32 vcc_lo, 0x1ff, v0
	s_waitcnt lgkmcnt(0)
	s_barrier
	buffer_gl0_inv
	s_branch .LBB11_33
.LBB11_32:                              ;   in Loop: Header=BB11_33 Depth=1
	s_or_b32 exec_lo, exec_lo, s7
	s_waitcnt lgkmcnt(0)
	s_barrier
	buffer_gl0_inv
	ds_read_b32 v7, v1 offset:4124
	v_add_co_u32 v5, s7, 0x200, v5
	s_xor_b32 s7, s7, -1
	v_add_nc_u32_e32 v4, 0x800, v4
	s_and_b32 s7, exec_lo, s7
	s_or_b32 s8, s7, s8
	s_waitcnt lgkmcnt(0)
	v_add_nc_u32_e32 v6, v7, v6
	s_andn2_b32 exec_lo, exec_lo, s8
	s_cbranch_execz .LBB11_51
.LBB11_33:                              ; =>This Inner Loop Header: Depth=1
	ds_read_b32 v7, v4
	s_waitcnt lgkmcnt(0)
	s_barrier
	buffer_gl0_inv
	v_cmp_gt_i32_e64 s7, s30, v7
	v_and_b32_e32 v8, s7, v2
	s_bcnt1_i32_b32 s9, s7
	v_mov_b32_e32 v9, s9
	v_bcnt_u32_b32 v8, v8, 0
	ds_write_b32 v3, v9 offset:4096
	s_waitcnt lgkmcnt(0)
	s_barrier
	buffer_gl0_inv
	s_and_saveexec_b32 s9, s0
	s_cbranch_execnz .LBB11_42
; %bb.34:                               ;   in Loop: Header=BB11_33 Depth=1
	s_or_b32 exec_lo, exec_lo, s9
	s_and_saveexec_b32 s9, s1
	s_cbranch_execnz .LBB11_43
.LBB11_35:                              ;   in Loop: Header=BB11_33 Depth=1
	s_or_b32 exec_lo, exec_lo, s9
	s_and_saveexec_b32 s9, s2
	s_cbranch_execnz .LBB11_44
.LBB11_36:                              ;   in Loop: Header=BB11_33 Depth=1
	s_or_b32 exec_lo, exec_lo, s9
	s_and_saveexec_b32 s9, s3
	s_cbranch_execnz .LBB11_45
.LBB11_37:                              ;   in Loop: Header=BB11_33 Depth=1
	s_or_b32 exec_lo, exec_lo, s9
	s_and_saveexec_b32 s9, s4
	s_cbranch_execnz .LBB11_46
.LBB11_38:                              ;   in Loop: Header=BB11_33 Depth=1
	s_or_b32 exec_lo, exec_lo, s9
	s_and_saveexec_b32 s9, s5
	s_cbranch_execnz .LBB11_47
.LBB11_39:                              ;   in Loop: Header=BB11_33 Depth=1
	s_or_b32 exec_lo, exec_lo, s9
	s_and_saveexec_b32 s9, s6
	s_cbranch_execnz .LBB11_48
.LBB11_40:                              ;   in Loop: Header=BB11_33 Depth=1
	s_or_b32 exec_lo, exec_lo, s9
	s_and_saveexec_b32 s9, s7
	s_cbranch_execnz .LBB11_49
.LBB11_41:                              ;   in Loop: Header=BB11_33 Depth=1
	s_or_b32 exec_lo, exec_lo, s9
	s_and_saveexec_b32 s7, vcc_lo
	s_cbranch_execz .LBB11_32
	s_branch .LBB11_50
.LBB11_42:                              ;   in Loop: Header=BB11_33 Depth=1
	ds_read_b32 v9, v1 offset:4096
	s_waitcnt lgkmcnt(0)
	v_add_nc_u32_e32 v8, v9, v8
	s_or_b32 exec_lo, exec_lo, s9
	s_and_saveexec_b32 s9, s1
	s_cbranch_execz .LBB11_35
.LBB11_43:                              ;   in Loop: Header=BB11_33 Depth=1
	ds_read_b32 v9, v1 offset:4100
	s_waitcnt lgkmcnt(0)
	v_add_nc_u32_e32 v8, v9, v8
	s_or_b32 exec_lo, exec_lo, s9
	s_and_saveexec_b32 s9, s2
	s_cbranch_execz .LBB11_36
.LBB11_44:                              ;   in Loop: Header=BB11_33 Depth=1
	ds_read_b32 v9, v1 offset:4104
	s_waitcnt lgkmcnt(0)
	v_add_nc_u32_e32 v8, v9, v8
	s_or_b32 exec_lo, exec_lo, s9
	s_and_saveexec_b32 s9, s3
	s_cbranch_execz .LBB11_37
.LBB11_45:                              ;   in Loop: Header=BB11_33 Depth=1
	ds_read_b32 v9, v1 offset:4108
	s_waitcnt lgkmcnt(0)
	v_add_nc_u32_e32 v8, v9, v8
	s_or_b32 exec_lo, exec_lo, s9
	s_and_saveexec_b32 s9, s4
	s_cbranch_execz .LBB11_38
.LBB11_46:                              ;   in Loop: Header=BB11_33 Depth=1
	ds_read_b32 v9, v1 offset:4112
	s_waitcnt lgkmcnt(0)
	v_add_nc_u32_e32 v8, v9, v8
	s_or_b32 exec_lo, exec_lo, s9
	s_and_saveexec_b32 s9, s5
	s_cbranch_execz .LBB11_39
.LBB11_47:                              ;   in Loop: Header=BB11_33 Depth=1
	ds_read_b32 v9, v1 offset:4116
	s_waitcnt lgkmcnt(0)
	v_add_nc_u32_e32 v8, v9, v8
	s_or_b32 exec_lo, exec_lo, s9
	s_and_saveexec_b32 s9, s6
	s_cbranch_execz .LBB11_40
.LBB11_48:                              ;   in Loop: Header=BB11_33 Depth=1
	ds_read_b32 v9, v1 offset:4120
	s_waitcnt lgkmcnt(0)
	v_add_nc_u32_e32 v8, v9, v8
	s_or_b32 exec_lo, exec_lo, s9
	s_and_saveexec_b32 s9, s7
	s_cbranch_execz .LBB11_41
.LBB11_49:                              ;   in Loop: Header=BB11_33 Depth=1
	v_lshlrev_b32_e32 v9, 2, v6
	v_lshlrev_b32_e32 v10, 2, v8
	v_add_nc_u32_e32 v9, 0, v9
	v_add3_u32 v9, v9, v10, -4
	ds_write_b32 v9, v7
	s_or_b32 exec_lo, exec_lo, s9
	s_and_saveexec_b32 s7, vcc_lo
	s_cbranch_execz .LBB11_32
.LBB11_50:                              ;   in Loop: Header=BB11_33 Depth=1
	ds_write_b32 v1, v8 offset:4124
	s_branch .LBB11_32
.LBB11_51:
	s_or_b32 exec_lo, exec_lo, s8
	s_ashr_i32 s29, s28, 31
	s_mov_b32 s3, exec_lo
	s_lshl_b64 s[0:1], s[28:29], 2
	s_add_u32 s0, s24, s0
	s_addc_u32 s1, s25, s1
	s_load_dwordx2 s[0:1], s[0:1], 0x0
	s_waitcnt lgkmcnt(0)
	s_sub_i32 s2, s1, s0
	v_cmpx_gt_i32_e64 s2, v0
	s_cbranch_execz .LBB11_61
; %bb.52:
	s_sub_i32 s3, s0, s18
	s_sub_i32 s0, s0, s1
	s_and_b32 s1, s2, 7
	s_cmp_lt_u32 s0, -7
	s_mov_b32 s7, 0
	s_cselect_b32 s4, -1, 0
	s_and_b32 s5, s2, -8
	s_cmp_lg_u32 s1, 0
	s_cselect_b32 s6, -1, 0
	s_branch .LBB11_54
.LBB11_53:                              ;   in Loop: Header=BB11_54 Depth=1
	v_ashrrev_i32_e32 v2, 31, v1
	v_add_nc_u32_e32 v0, 0x200, v0
	s_waitcnt lgkmcnt(0)
	v_add_nc_u32_e32 v3, s18, v3
	v_lshlrev_b64 v[1:2], 2, v[1:2]
	v_cmp_le_i32_e32 vcc_lo, s2, v0
	s_or_b32 s7, vcc_lo, s7
	v_add_co_u32 v1, s0, s26, v1
	v_add_co_ci_u32_e64 v2, null, s27, v2, s0
	global_store_dword v[1:2], v3, off
	s_andn2_b32 exec_lo, exec_lo, s7
	s_cbranch_execz .LBB11_61
.LBB11_54:                              ; =>This Loop Header: Depth=1
                                        ;     Child Loop BB11_56 Depth 2
                                        ;     Child Loop BB11_60 Depth 2
	v_lshl_add_u32 v1, v0, 2, 0
	s_andn2_b32 vcc_lo, exec_lo, s4
	s_mov_b32 s0, 0
	ds_read_b32 v3, v1
	v_mov_b32_e32 v1, s3
	s_cbranch_vccnz .LBB11_58
; %bb.55:                               ;   in Loop: Header=BB11_54 Depth=1
	v_mov_b32_e32 v1, s3
	s_mov_b32 s8, 0
	s_inst_prefetch 0x1
	.p2align	6
.LBB11_56:                              ;   Parent Loop BB11_54 Depth=1
                                        ; =>  This Inner Loop Header: Depth=2
	v_mov_b32_e32 v2, s8
	s_add_i32 s0, s0, 8
	s_add_i32 s8, s8, 32
	s_cmp_eq_u32 s5, s0
	ds_read2_b32 v[4:5], v2 offset1:1
	ds_read2_b32 v[6:7], v2 offset0:2 offset1:3
	ds_read2_b32 v[8:9], v2 offset0:4 offset1:5
	ds_read2_b32 v[10:11], v2 offset0:6 offset1:7
	s_waitcnt lgkmcnt(3)
	v_cmp_gt_i32_e32 vcc_lo, v3, v4
	v_cndmask_b32_e64 v2, 0, 1, vcc_lo
	s_waitcnt lgkmcnt(2)
	v_cmp_gt_i32_e32 vcc_lo, v3, v6
	v_cndmask_b32_e64 v4, 0, 1, vcc_lo
	v_cmp_gt_i32_e32 vcc_lo, v3, v5
	v_add_co_ci_u32_e64 v1, null, v1, v2, vcc_lo
	s_waitcnt lgkmcnt(1)
	v_cmp_gt_i32_e32 vcc_lo, v3, v8
	v_cndmask_b32_e64 v2, 0, 1, vcc_lo
	v_cmp_gt_i32_e32 vcc_lo, v3, v7
	v_add_co_ci_u32_e64 v1, null, v1, v4, vcc_lo
	;; [unrolled: 5-line block ×3, first 2 shown]
	v_cmp_gt_i32_e32 vcc_lo, v3, v11
	v_add_co_ci_u32_e64 v1, null, v1, v4, vcc_lo
	s_cbranch_scc0 .LBB11_56
; %bb.57:                               ;   in Loop: Header=BB11_54 Depth=1
	s_inst_prefetch 0x2
	s_mov_b32 s0, s5
.LBB11_58:                              ;   in Loop: Header=BB11_54 Depth=1
	s_andn2_b32 vcc_lo, exec_lo, s6
	s_cbranch_vccnz .LBB11_53
; %bb.59:                               ;   in Loop: Header=BB11_54 Depth=1
	s_lshl_b32 s0, s0, 2
	s_mov_b32 s8, s1
	s_add_i32 s0, s0, 0
.LBB11_60:                              ;   Parent Loop BB11_54 Depth=1
                                        ; =>  This Inner Loop Header: Depth=2
	v_mov_b32_e32 v2, s0
	s_add_i32 s8, s8, -1
	s_add_i32 s0, s0, 4
	s_cmp_lg_u32 s8, 0
	ds_read_b32 v2, v2
	s_waitcnt lgkmcnt(0)
	v_cmp_gt_i32_e32 vcc_lo, v3, v2
	v_add_co_ci_u32_e64 v1, null, 0, v1, vcc_lo
	s_cbranch_scc1 .LBB11_60
	s_branch .LBB11_53
.LBB11_61:
	s_endpgm
	.section	.rodata,"a",@progbits
	.p2align	6, 0x0
	.amdhsa_kernel _ZN9rocsparseL35csrgemm_symbolic_fill_block_per_rowILj512ELj32ELj1024ELj137ELj64EiiEEvT5_PKS1_S3_PKT4_S3_S6_S3_S6_S3_S6_PS1_21rocsparse_index_base_S8_S8_S8_bb
		.amdhsa_group_segment_fixed_size 0
		.amdhsa_private_segment_fixed_size 0
		.amdhsa_kernarg_size 108
		.amdhsa_user_sgpr_count 6
		.amdhsa_user_sgpr_private_segment_buffer 1
		.amdhsa_user_sgpr_dispatch_ptr 0
		.amdhsa_user_sgpr_queue_ptr 0
		.amdhsa_user_sgpr_kernarg_segment_ptr 1
		.amdhsa_user_sgpr_dispatch_id 0
		.amdhsa_user_sgpr_flat_scratch_init 0
		.amdhsa_user_sgpr_private_segment_size 0
		.amdhsa_wavefront_size32 1
		.amdhsa_uses_dynamic_stack 0
		.amdhsa_system_sgpr_private_segment_wavefront_offset 0
		.amdhsa_system_sgpr_workgroup_id_x 1
		.amdhsa_system_sgpr_workgroup_id_y 0
		.amdhsa_system_sgpr_workgroup_id_z 0
		.amdhsa_system_sgpr_workgroup_info 0
		.amdhsa_system_vgpr_workitem_id 0
		.amdhsa_next_free_vgpr 12
		.amdhsa_next_free_sgpr 31
		.amdhsa_reserve_vcc 1
		.amdhsa_reserve_flat_scratch 0
		.amdhsa_float_round_mode_32 0
		.amdhsa_float_round_mode_16_64 0
		.amdhsa_float_denorm_mode_32 3
		.amdhsa_float_denorm_mode_16_64 3
		.amdhsa_dx10_clamp 1
		.amdhsa_ieee_mode 1
		.amdhsa_fp16_overflow 0
		.amdhsa_workgroup_processor_mode 1
		.amdhsa_memory_ordered 1
		.amdhsa_forward_progress 1
		.amdhsa_shared_vgpr_count 0
		.amdhsa_exception_fp_ieee_invalid_op 0
		.amdhsa_exception_fp_denorm_src 0
		.amdhsa_exception_fp_ieee_div_zero 0
		.amdhsa_exception_fp_ieee_overflow 0
		.amdhsa_exception_fp_ieee_underflow 0
		.amdhsa_exception_fp_ieee_inexact 0
		.amdhsa_exception_int_div_zero 0
	.end_amdhsa_kernel
	.section	.text._ZN9rocsparseL35csrgemm_symbolic_fill_block_per_rowILj512ELj32ELj1024ELj137ELj64EiiEEvT5_PKS1_S3_PKT4_S3_S6_S3_S6_S3_S6_PS1_21rocsparse_index_base_S8_S8_S8_bb,"axG",@progbits,_ZN9rocsparseL35csrgemm_symbolic_fill_block_per_rowILj512ELj32ELj1024ELj137ELj64EiiEEvT5_PKS1_S3_PKT4_S3_S6_S3_S6_S3_S6_PS1_21rocsparse_index_base_S8_S8_S8_bb,comdat
.Lfunc_end11:
	.size	_ZN9rocsparseL35csrgemm_symbolic_fill_block_per_rowILj512ELj32ELj1024ELj137ELj64EiiEEvT5_PKS1_S3_PKT4_S3_S6_S3_S6_S3_S6_PS1_21rocsparse_index_base_S8_S8_S8_bb, .Lfunc_end11-_ZN9rocsparseL35csrgemm_symbolic_fill_block_per_rowILj512ELj32ELj1024ELj137ELj64EiiEEvT5_PKS1_S3_PKT4_S3_S6_S3_S6_S3_S6_PS1_21rocsparse_index_base_S8_S8_S8_bb
                                        ; -- End function
	.set _ZN9rocsparseL35csrgemm_symbolic_fill_block_per_rowILj512ELj32ELj1024ELj137ELj64EiiEEvT5_PKS1_S3_PKT4_S3_S6_S3_S6_S3_S6_PS1_21rocsparse_index_base_S8_S8_S8_bb.num_vgpr, 12
	.set _ZN9rocsparseL35csrgemm_symbolic_fill_block_per_rowILj512ELj32ELj1024ELj137ELj64EiiEEvT5_PKS1_S3_PKT4_S3_S6_S3_S6_S3_S6_PS1_21rocsparse_index_base_S8_S8_S8_bb.num_agpr, 0
	.set _ZN9rocsparseL35csrgemm_symbolic_fill_block_per_rowILj512ELj32ELj1024ELj137ELj64EiiEEvT5_PKS1_S3_PKT4_S3_S6_S3_S6_S3_S6_PS1_21rocsparse_index_base_S8_S8_S8_bb.numbered_sgpr, 31
	.set _ZN9rocsparseL35csrgemm_symbolic_fill_block_per_rowILj512ELj32ELj1024ELj137ELj64EiiEEvT5_PKS1_S3_PKT4_S3_S6_S3_S6_S3_S6_PS1_21rocsparse_index_base_S8_S8_S8_bb.num_named_barrier, 0
	.set _ZN9rocsparseL35csrgemm_symbolic_fill_block_per_rowILj512ELj32ELj1024ELj137ELj64EiiEEvT5_PKS1_S3_PKT4_S3_S6_S3_S6_S3_S6_PS1_21rocsparse_index_base_S8_S8_S8_bb.private_seg_size, 0
	.set _ZN9rocsparseL35csrgemm_symbolic_fill_block_per_rowILj512ELj32ELj1024ELj137ELj64EiiEEvT5_PKS1_S3_PKT4_S3_S6_S3_S6_S3_S6_PS1_21rocsparse_index_base_S8_S8_S8_bb.uses_vcc, 1
	.set _ZN9rocsparseL35csrgemm_symbolic_fill_block_per_rowILj512ELj32ELj1024ELj137ELj64EiiEEvT5_PKS1_S3_PKT4_S3_S6_S3_S6_S3_S6_PS1_21rocsparse_index_base_S8_S8_S8_bb.uses_flat_scratch, 0
	.set _ZN9rocsparseL35csrgemm_symbolic_fill_block_per_rowILj512ELj32ELj1024ELj137ELj64EiiEEvT5_PKS1_S3_PKT4_S3_S6_S3_S6_S3_S6_PS1_21rocsparse_index_base_S8_S8_S8_bb.has_dyn_sized_stack, 0
	.set _ZN9rocsparseL35csrgemm_symbolic_fill_block_per_rowILj512ELj32ELj1024ELj137ELj64EiiEEvT5_PKS1_S3_PKT4_S3_S6_S3_S6_S3_S6_PS1_21rocsparse_index_base_S8_S8_S8_bb.has_recursion, 0
	.set _ZN9rocsparseL35csrgemm_symbolic_fill_block_per_rowILj512ELj32ELj1024ELj137ELj64EiiEEvT5_PKS1_S3_PKT4_S3_S6_S3_S6_S3_S6_PS1_21rocsparse_index_base_S8_S8_S8_bb.has_indirect_call, 0
	.section	.AMDGPU.csdata,"",@progbits
; Kernel info:
; codeLenInByte = 2228
; TotalNumSgprs: 33
; NumVgprs: 12
; ScratchSize: 0
; MemoryBound: 0
; FloatMode: 240
; IeeeMode: 1
; LDSByteSize: 0 bytes/workgroup (compile time only)
; SGPRBlocks: 0
; VGPRBlocks: 1
; NumSGPRsForWavesPerEU: 33
; NumVGPRsForWavesPerEU: 12
; Occupancy: 16
; WaveLimiterHint : 1
; COMPUTE_PGM_RSRC2:SCRATCH_EN: 0
; COMPUTE_PGM_RSRC2:USER_SGPR: 6
; COMPUTE_PGM_RSRC2:TRAP_HANDLER: 0
; COMPUTE_PGM_RSRC2:TGID_X_EN: 1
; COMPUTE_PGM_RSRC2:TGID_Y_EN: 0
; COMPUTE_PGM_RSRC2:TGID_Z_EN: 0
; COMPUTE_PGM_RSRC2:TIDIG_COMP_CNT: 0
	.section	.text._ZN9rocsparseL35csrgemm_symbolic_fill_block_per_rowILj1024ELj32ELj2048ELj137ELj32EiiEEvT5_PKS1_S3_PKT4_S3_S6_S3_S6_S3_S6_PS1_21rocsparse_index_base_S8_S8_S8_bb,"axG",@progbits,_ZN9rocsparseL35csrgemm_symbolic_fill_block_per_rowILj1024ELj32ELj2048ELj137ELj32EiiEEvT5_PKS1_S3_PKT4_S3_S6_S3_S6_S3_S6_PS1_21rocsparse_index_base_S8_S8_S8_bb,comdat
	.globl	_ZN9rocsparseL35csrgemm_symbolic_fill_block_per_rowILj1024ELj32ELj2048ELj137ELj32EiiEEvT5_PKS1_S3_PKT4_S3_S6_S3_S6_S3_S6_PS1_21rocsparse_index_base_S8_S8_S8_bb ; -- Begin function _ZN9rocsparseL35csrgemm_symbolic_fill_block_per_rowILj1024ELj32ELj2048ELj137ELj32EiiEEvT5_PKS1_S3_PKT4_S3_S6_S3_S6_S3_S6_PS1_21rocsparse_index_base_S8_S8_S8_bb
	.p2align	8
	.type	_ZN9rocsparseL35csrgemm_symbolic_fill_block_per_rowILj1024ELj32ELj2048ELj137ELj32EiiEEvT5_PKS1_S3_PKT4_S3_S6_S3_S6_S3_S6_PS1_21rocsparse_index_base_S8_S8_S8_bb,@function
_ZN9rocsparseL35csrgemm_symbolic_fill_block_per_rowILj1024ELj32ELj2048ELj137ELj32EiiEEvT5_PKS1_S3_PKT4_S3_S6_S3_S6_S3_S6_PS1_21rocsparse_index_base_S8_S8_S8_bb: ; @_ZN9rocsparseL35csrgemm_symbolic_fill_block_per_rowILj1024ELj32ELj2048ELj137ELj32EiiEEvT5_PKS1_S3_PKT4_S3_S6_S3_S6_S3_S6_PS1_21rocsparse_index_base_S8_S8_S8_bb
; %bb.0:
	s_clause 0x3
	s_load_dword s33, s[4:5], 0x0
	s_load_dwordx4 s[36:39], s[4:5], 0x48
	s_load_dwordx8 s[8:15], s[4:5], 0x28
	s_load_dwordx8 s[16:23], s[4:5], 0x8
	v_lshl_add_u32 v4, v0, 2, 0
	v_or_b32_e32 v5, 0xfffffc00, v0
	s_mov_b32 s0, 0
	v_mov_b32_e32 v1, v4
	v_mov_b32_e32 v3, v5
	s_waitcnt lgkmcnt(0)
	v_mov_b32_e32 v2, s33
.LBB12_1:                               ; =>This Inner Loop Header: Depth=1
	v_add_co_u32 v3, s1, 0x400, v3
	s_xor_b32 s1, s1, -1
	ds_write_b32 v1, v2
	v_add_nc_u32_e32 v1, 0x1000, v1
	s_and_b32 s1, exec_lo, s1
	s_or_b32 s0, s1, s0
	s_andn2_b32 exec_lo, exec_lo, s0
	s_cbranch_execnz .LBB12_1
; %bb.2:
	s_or_b32 exec_lo, exec_lo, s0
	s_load_dword s0, s[4:5], 0x68
	s_waitcnt lgkmcnt(0)
	s_barrier
	buffer_gl0_inv
	s_load_dword s1, s[16:17], 0x0
	s_mov_b32 s3, 0
	v_lshrrev_b32_e32 v6, 5, v0
	s_bitcmp1_b32 s0, 0
	s_cselect_b32 s7, -1, 0
	s_waitcnt lgkmcnt(0)
	s_add_i32 s2, s1, s6
	s_lshl_b64 s[2:3], s[2:3], 2
	s_add_u32 s2, s18, s2
	s_addc_u32 s3, s19, s3
	s_load_dwordx4 s[40:43], s[4:5], 0x58
	s_load_dword s34, s[2:3], 0x0
	s_and_b32 vcc_lo, exec_lo, s7
	s_cbranch_vccz .LBB12_18
; %bb.3:
	s_waitcnt lgkmcnt(0)
	s_ashr_i32 s35, s34, 31
	v_subrev_nc_u32_e32 v1, s40, v6
	s_lshl_b64 s[2:3], s[34:35], 2
	s_add_u32 s2, s20, s2
	s_addc_u32 s3, s21, s3
	s_load_dwordx2 s[2:3], s[2:3], 0x0
	s_waitcnt lgkmcnt(0)
	v_add_nc_u32_e32 v1, s2, v1
	s_sub_i32 s1, s3, s40
	s_mov_b32 s2, exec_lo
	v_cmpx_gt_i32_e64 s1, v1
	s_cbranch_execz .LBB12_17
; %bb.4:
	v_and_b32_e32 v2, 31, v0
	s_mov_b32 s3, 0
	v_subrev_nc_u32_e32 v7, s41, v2
	s_branch .LBB12_6
.LBB12_5:                               ;   in Loop: Header=BB12_6 Depth=1
	s_or_b32 exec_lo, exec_lo, s4
	v_add_nc_u32_e32 v1, 32, v1
	v_cmp_le_i32_e32 vcc_lo, s1, v1
	s_or_b32 s3, vcc_lo, s3
	s_andn2_b32 exec_lo, exec_lo, s3
	s_cbranch_execz .LBB12_17
.LBB12_6:                               ; =>This Loop Header: Depth=1
                                        ;     Child Loop BB12_9 Depth 2
                                        ;       Child Loop BB12_12 Depth 3
	v_ashrrev_i32_e32 v2, 31, v1
	s_mov_b32 s4, exec_lo
	v_lshlrev_b64 v[2:3], 2, v[1:2]
	v_add_co_u32 v2, vcc_lo, s22, v2
	v_add_co_ci_u32_e64 v3, null, s23, v3, vcc_lo
	global_load_dword v2, v[2:3], off
	s_waitcnt vmcnt(0)
	v_subrev_nc_u32_e32 v2, s40, v2
	v_ashrrev_i32_e32 v3, 31, v2
	v_lshlrev_b64 v[2:3], 2, v[2:3]
	v_add_co_u32 v2, vcc_lo, s8, v2
	v_add_co_ci_u32_e64 v3, null, s9, v3, vcc_lo
	global_load_dwordx2 v[2:3], v[2:3], off
	s_waitcnt vmcnt(0)
	v_subrev_nc_u32_e32 v8, s41, v3
	v_add_nc_u32_e32 v2, v2, v7
	v_cmpx_lt_i32_e64 v2, v8
	s_cbranch_execz .LBB12_5
; %bb.7:                                ;   in Loop: Header=BB12_6 Depth=1
	s_mov_b32 s5, 0
	s_branch .LBB12_9
.LBB12_8:                               ;   in Loop: Header=BB12_9 Depth=2
	s_inst_prefetch 0x2
	s_or_b32 exec_lo, exec_lo, s6
	v_add_nc_u32_e32 v2, 32, v2
	v_cmp_ge_i32_e32 vcc_lo, v2, v8
	s_or_b32 s5, vcc_lo, s5
	s_andn2_b32 exec_lo, exec_lo, s5
	s_cbranch_execz .LBB12_5
.LBB12_9:                               ;   Parent Loop BB12_6 Depth=1
                                        ; =>  This Loop Header: Depth=2
                                        ;       Child Loop BB12_12 Depth 3
	v_ashrrev_i32_e32 v3, 31, v2
	s_mov_b32 s6, 0
                                        ; implicit-def: $sgpr7
	v_lshlrev_b64 v[9:10], 2, v[2:3]
	v_add_co_u32 v9, vcc_lo, s10, v9
	v_add_co_ci_u32_e64 v10, null, s11, v10, vcc_lo
	global_load_dword v3, v[9:10], off
	s_waitcnt vmcnt(0)
	v_subrev_nc_u32_e32 v3, s41, v3
	v_mul_lo_u32 v9, 0x89, v3
	v_and_b32_e32 v9, 0x7ff, v9
	s_inst_prefetch 0x1
	s_branch .LBB12_12
	.p2align	6
.LBB12_10:                              ;   in Loop: Header=BB12_12 Depth=3
	s_or_b32 exec_lo, exec_lo, s17
	s_andn2_b32 s7, s7, exec_lo
	s_and_b32 s17, s18, exec_lo
	s_or_b32 s7, s7, s17
.LBB12_11:                              ;   in Loop: Header=BB12_12 Depth=3
	s_or_b32 exec_lo, exec_lo, s16
	s_xor_b32 s16, s7, -1
	s_and_b32 s16, exec_lo, s16
	s_or_b32 s6, s16, s6
	s_andn2_b32 exec_lo, exec_lo, s6
	s_cbranch_execz .LBB12_8
.LBB12_12:                              ;   Parent Loop BB12_6 Depth=1
                                        ;     Parent Loop BB12_9 Depth=2
                                        ; =>    This Inner Loop Header: Depth=3
	v_lshl_add_u32 v10, v9, 2, 0
	s_andn2_b32 s7, s7, exec_lo
	s_mov_b32 s16, exec_lo
	ds_read_b32 v11, v10
	s_waitcnt lgkmcnt(0)
	v_cmpx_ne_u32_e64 v11, v3
	s_cbranch_execz .LBB12_11
; %bb.13:                               ;   in Loop: Header=BB12_12 Depth=3
	s_mov_b32 s17, exec_lo
	v_cmpx_ne_u32_e64 s33, v11
	s_xor_b32 s17, exec_lo, s17
; %bb.14:                               ;   in Loop: Header=BB12_12 Depth=3
	v_add_nc_u32_e32 v9, 1, v9
                                        ; implicit-def: $vgpr10
	v_and_b32_e32 v9, 0x7ff, v9
; %bb.15:                               ;   in Loop: Header=BB12_12 Depth=3
	s_or_saveexec_b32 s17, s17
	s_mov_b32 s18, -1
	s_xor_b32 exec_lo, exec_lo, s17
	s_cbranch_execz .LBB12_10
; %bb.16:                               ;   in Loop: Header=BB12_12 Depth=3
	v_mov_b32_e32 v11, s33
	ds_cmpst_rtn_b32 v10, v10, v11, v3
	s_waitcnt lgkmcnt(0)
	v_cmp_ne_u32_e32 vcc_lo, s33, v10
	s_orn2_b32 s18, vcc_lo, exec_lo
	s_branch .LBB12_10
.LBB12_17:
	s_or_b32 exec_lo, exec_lo, s2
.LBB12_18:
	s_bfe_u32 s0, s0, 0x10008
	s_cmp_eq_u32 s0, 0
	s_cbranch_scc1 .LBB12_31
; %bb.19:
	s_waitcnt lgkmcnt(0)
	s_ashr_i32 s35, s34, 31
	v_subrev_nc_u32_e32 v1, s43, v0
	s_lshl_b64 s[0:1], s[34:35], 2
	s_add_u32 s0, s12, s0
	s_addc_u32 s1, s13, s1
	s_load_dwordx2 s[0:1], s[0:1], 0x0
	s_waitcnt lgkmcnt(0)
	v_add_nc_u32_e32 v1, s0, v1
	s_sub_i32 s0, s1, s43
	s_mov_b32 s1, exec_lo
	v_cmpx_gt_i32_e64 s0, v1
	s_cbranch_execz .LBB12_30
; %bb.20:
	s_mov_b32 s2, 0
	s_branch .LBB12_22
.LBB12_21:                              ;   in Loop: Header=BB12_22 Depth=1
	s_inst_prefetch 0x2
	s_or_b32 exec_lo, exec_lo, s3
	v_add_nc_u32_e32 v1, 0x400, v1
	v_cmp_le_i32_e32 vcc_lo, s0, v1
	s_or_b32 s2, vcc_lo, s2
	s_andn2_b32 exec_lo, exec_lo, s2
	s_cbranch_execz .LBB12_30
.LBB12_22:                              ; =>This Loop Header: Depth=1
                                        ;     Child Loop BB12_25 Depth 2
	v_ashrrev_i32_e32 v2, 31, v1
	s_mov_b32 s3, 0
                                        ; implicit-def: $sgpr4
	v_lshlrev_b64 v[2:3], 2, v[1:2]
	v_add_co_u32 v2, vcc_lo, s14, v2
	v_add_co_ci_u32_e64 v3, null, s15, v3, vcc_lo
	global_load_dword v2, v[2:3], off
	s_waitcnt vmcnt(0)
	v_subrev_nc_u32_e32 v2, s43, v2
	v_mul_lo_u32 v3, 0x89, v2
	v_and_b32_e32 v3, 0x7ff, v3
	s_inst_prefetch 0x1
	s_branch .LBB12_25
	.p2align	6
.LBB12_23:                              ;   in Loop: Header=BB12_25 Depth=2
	s_or_b32 exec_lo, exec_lo, s6
	s_andn2_b32 s4, s4, exec_lo
	s_and_b32 s6, s7, exec_lo
	s_or_b32 s4, s4, s6
.LBB12_24:                              ;   in Loop: Header=BB12_25 Depth=2
	s_or_b32 exec_lo, exec_lo, s5
	s_xor_b32 s5, s4, -1
	s_and_b32 s5, exec_lo, s5
	s_or_b32 s3, s5, s3
	s_andn2_b32 exec_lo, exec_lo, s3
	s_cbranch_execz .LBB12_21
.LBB12_25:                              ;   Parent Loop BB12_22 Depth=1
                                        ; =>  This Inner Loop Header: Depth=2
	v_lshl_add_u32 v7, v3, 2, 0
	s_andn2_b32 s4, s4, exec_lo
	s_mov_b32 s5, exec_lo
	ds_read_b32 v8, v7
	s_waitcnt lgkmcnt(0)
	v_cmpx_ne_u32_e64 v8, v2
	s_cbranch_execz .LBB12_24
; %bb.26:                               ;   in Loop: Header=BB12_25 Depth=2
	s_mov_b32 s6, exec_lo
	v_cmpx_ne_u32_e64 s33, v8
	s_xor_b32 s6, exec_lo, s6
; %bb.27:                               ;   in Loop: Header=BB12_25 Depth=2
	v_add_nc_u32_e32 v3, 1, v3
                                        ; implicit-def: $vgpr7
	v_and_b32_e32 v3, 0x7ff, v3
; %bb.28:                               ;   in Loop: Header=BB12_25 Depth=2
	s_or_saveexec_b32 s6, s6
	s_mov_b32 s7, -1
	s_xor_b32 exec_lo, exec_lo, s6
	s_cbranch_execz .LBB12_23
; %bb.29:                               ;   in Loop: Header=BB12_25 Depth=2
	v_mov_b32_e32 v8, s33
	ds_cmpst_rtn_b32 v7, v7, v8, v2
	s_waitcnt lgkmcnt(0)
	v_cmp_ne_u32_e32 vcc_lo, s33, v7
	s_orn2_b32 s7, vcc_lo, exec_lo
	s_branch .LBB12_23
.LBB12_30:
	s_or_b32 exec_lo, exec_lo, s1
.LBB12_31:
	v_mbcnt_lo_u32_b32 v3, -1, 0
	v_mov_b32_e32 v1, 0
	v_lshl_add_u32 v2, v6, 2, 0
	v_cmp_lt_u32_e64 s0, 31, v0
	v_cmp_lt_u32_e64 s1, 63, v0
	v_xor_b32_e32 v3, 31, v3
	v_cmp_lt_u32_e64 s2, 0x5f, v0
	v_cmp_lt_u32_e64 s3, 0x7f, v0
	v_cmp_lt_u32_e64 s4, 0x9f, v0
	v_cmp_lt_u32_e64 s5, 0xbf, v0
	v_lshrrev_b32_e64 v3, v3, -1
	v_cmp_lt_u32_e64 s6, 0xdf, v0
	v_cmp_lt_u32_e64 s7, 0xff, v0
	;; [unrolled: 1-line block ×25, first 2 shown]
	v_mov_b32_e32 v6, 0
	s_mov_b32 s35, 0
	v_cmp_eq_u32_e32 vcc_lo, 0x3ff, v0
	s_waitcnt lgkmcnt(0)
	s_barrier
	buffer_gl0_inv
	s_branch .LBB12_33
.LBB12_32:                              ;   in Loop: Header=BB12_33 Depth=1
	s_or_b32 exec_lo, exec_lo, s31
	s_waitcnt lgkmcnt(0)
	s_barrier
	buffer_gl0_inv
	ds_read_b32 v7, v1 offset:8316
	v_add_co_u32 v5, s31, 0x400, v5
	s_xor_b32 s31, s31, -1
	v_add_nc_u32_e32 v4, 0x1000, v4
	s_and_b32 s31, exec_lo, s31
	s_or_b32 s35, s31, s35
	s_waitcnt lgkmcnt(0)
	v_add_nc_u32_e32 v6, v7, v6
	s_andn2_b32 exec_lo, exec_lo, s35
	s_cbranch_execz .LBB12_99
.LBB12_33:                              ; =>This Inner Loop Header: Depth=1
	ds_read_b32 v7, v4
	s_waitcnt lgkmcnt(0)
	s_barrier
	buffer_gl0_inv
	v_cmp_gt_i32_e64 s31, s33, v7
	v_and_b32_e32 v8, s31, v3
	s_bcnt1_i32_b32 s40, s31
	v_mov_b32_e32 v9, s40
	v_bcnt_u32_b32 v8, v8, 0
	ds_write_b32 v2, v9 offset:8192
	s_waitcnt lgkmcnt(0)
	s_barrier
	buffer_gl0_inv
	s_and_saveexec_b32 s40, s0
	s_cbranch_execnz .LBB12_66
; %bb.34:                               ;   in Loop: Header=BB12_33 Depth=1
	s_or_b32 exec_lo, exec_lo, s40
	s_and_saveexec_b32 s40, s1
	s_cbranch_execnz .LBB12_67
.LBB12_35:                              ;   in Loop: Header=BB12_33 Depth=1
	s_or_b32 exec_lo, exec_lo, s40
	s_and_saveexec_b32 s40, s2
	s_cbranch_execnz .LBB12_68
.LBB12_36:                              ;   in Loop: Header=BB12_33 Depth=1
	s_or_b32 exec_lo, exec_lo, s40
	s_and_saveexec_b32 s40, s3
	s_cbranch_execnz .LBB12_69
.LBB12_37:                              ;   in Loop: Header=BB12_33 Depth=1
	s_or_b32 exec_lo, exec_lo, s40
	s_and_saveexec_b32 s40, s4
	s_cbranch_execnz .LBB12_70
.LBB12_38:                              ;   in Loop: Header=BB12_33 Depth=1
	s_or_b32 exec_lo, exec_lo, s40
	s_and_saveexec_b32 s40, s5
	s_cbranch_execnz .LBB12_71
.LBB12_39:                              ;   in Loop: Header=BB12_33 Depth=1
	s_or_b32 exec_lo, exec_lo, s40
	s_and_saveexec_b32 s40, s6
	s_cbranch_execnz .LBB12_72
.LBB12_40:                              ;   in Loop: Header=BB12_33 Depth=1
	s_or_b32 exec_lo, exec_lo, s40
	s_and_saveexec_b32 s40, s7
	s_cbranch_execnz .LBB12_73
.LBB12_41:                              ;   in Loop: Header=BB12_33 Depth=1
	s_or_b32 exec_lo, exec_lo, s40
	s_and_saveexec_b32 s40, s8
	s_cbranch_execnz .LBB12_74
.LBB12_42:                              ;   in Loop: Header=BB12_33 Depth=1
	s_or_b32 exec_lo, exec_lo, s40
	s_and_saveexec_b32 s40, s9
	s_cbranch_execnz .LBB12_75
.LBB12_43:                              ;   in Loop: Header=BB12_33 Depth=1
	s_or_b32 exec_lo, exec_lo, s40
	s_and_saveexec_b32 s40, s10
	s_cbranch_execnz .LBB12_76
.LBB12_44:                              ;   in Loop: Header=BB12_33 Depth=1
	s_or_b32 exec_lo, exec_lo, s40
	s_and_saveexec_b32 s40, s11
	s_cbranch_execnz .LBB12_77
.LBB12_45:                              ;   in Loop: Header=BB12_33 Depth=1
	s_or_b32 exec_lo, exec_lo, s40
	s_and_saveexec_b32 s40, s12
	s_cbranch_execnz .LBB12_78
.LBB12_46:                              ;   in Loop: Header=BB12_33 Depth=1
	s_or_b32 exec_lo, exec_lo, s40
	s_and_saveexec_b32 s40, s13
	s_cbranch_execnz .LBB12_79
.LBB12_47:                              ;   in Loop: Header=BB12_33 Depth=1
	s_or_b32 exec_lo, exec_lo, s40
	s_and_saveexec_b32 s40, s14
	s_cbranch_execnz .LBB12_80
.LBB12_48:                              ;   in Loop: Header=BB12_33 Depth=1
	s_or_b32 exec_lo, exec_lo, s40
	s_and_saveexec_b32 s40, s15
	s_cbranch_execnz .LBB12_81
.LBB12_49:                              ;   in Loop: Header=BB12_33 Depth=1
	s_or_b32 exec_lo, exec_lo, s40
	s_and_saveexec_b32 s40, s16
	s_cbranch_execnz .LBB12_82
.LBB12_50:                              ;   in Loop: Header=BB12_33 Depth=1
	s_or_b32 exec_lo, exec_lo, s40
	s_and_saveexec_b32 s40, s17
	s_cbranch_execnz .LBB12_83
.LBB12_51:                              ;   in Loop: Header=BB12_33 Depth=1
	s_or_b32 exec_lo, exec_lo, s40
	s_and_saveexec_b32 s40, s18
	s_cbranch_execnz .LBB12_84
.LBB12_52:                              ;   in Loop: Header=BB12_33 Depth=1
	s_or_b32 exec_lo, exec_lo, s40
	s_and_saveexec_b32 s40, s19
	s_cbranch_execnz .LBB12_85
.LBB12_53:                              ;   in Loop: Header=BB12_33 Depth=1
	s_or_b32 exec_lo, exec_lo, s40
	s_and_saveexec_b32 s40, s20
	s_cbranch_execnz .LBB12_86
.LBB12_54:                              ;   in Loop: Header=BB12_33 Depth=1
	s_or_b32 exec_lo, exec_lo, s40
	s_and_saveexec_b32 s40, s21
	s_cbranch_execnz .LBB12_87
.LBB12_55:                              ;   in Loop: Header=BB12_33 Depth=1
	s_or_b32 exec_lo, exec_lo, s40
	s_and_saveexec_b32 s40, s22
	s_cbranch_execnz .LBB12_88
.LBB12_56:                              ;   in Loop: Header=BB12_33 Depth=1
	s_or_b32 exec_lo, exec_lo, s40
	s_and_saveexec_b32 s40, s23
	s_cbranch_execnz .LBB12_89
.LBB12_57:                              ;   in Loop: Header=BB12_33 Depth=1
	s_or_b32 exec_lo, exec_lo, s40
	s_and_saveexec_b32 s40, s24
	s_cbranch_execnz .LBB12_90
.LBB12_58:                              ;   in Loop: Header=BB12_33 Depth=1
	s_or_b32 exec_lo, exec_lo, s40
	s_and_saveexec_b32 s40, s25
	s_cbranch_execnz .LBB12_91
.LBB12_59:                              ;   in Loop: Header=BB12_33 Depth=1
	s_or_b32 exec_lo, exec_lo, s40
	s_and_saveexec_b32 s40, s26
	s_cbranch_execnz .LBB12_92
.LBB12_60:                              ;   in Loop: Header=BB12_33 Depth=1
	s_or_b32 exec_lo, exec_lo, s40
	s_and_saveexec_b32 s40, s27
	s_cbranch_execnz .LBB12_93
.LBB12_61:                              ;   in Loop: Header=BB12_33 Depth=1
	s_or_b32 exec_lo, exec_lo, s40
	s_and_saveexec_b32 s40, s28
	s_cbranch_execnz .LBB12_94
.LBB12_62:                              ;   in Loop: Header=BB12_33 Depth=1
	s_or_b32 exec_lo, exec_lo, s40
	s_and_saveexec_b32 s40, s29
	s_cbranch_execnz .LBB12_95
.LBB12_63:                              ;   in Loop: Header=BB12_33 Depth=1
	s_or_b32 exec_lo, exec_lo, s40
	s_and_saveexec_b32 s40, s30
	s_cbranch_execnz .LBB12_96
.LBB12_64:                              ;   in Loop: Header=BB12_33 Depth=1
	s_or_b32 exec_lo, exec_lo, s40
	s_and_saveexec_b32 s40, s31
	s_cbranch_execnz .LBB12_97
.LBB12_65:                              ;   in Loop: Header=BB12_33 Depth=1
	s_or_b32 exec_lo, exec_lo, s40
	s_and_saveexec_b32 s31, vcc_lo
	s_cbranch_execz .LBB12_32
	s_branch .LBB12_98
.LBB12_66:                              ;   in Loop: Header=BB12_33 Depth=1
	ds_read_b32 v9, v1 offset:8192
	s_waitcnt lgkmcnt(0)
	v_add_nc_u32_e32 v8, v9, v8
	s_or_b32 exec_lo, exec_lo, s40
	s_and_saveexec_b32 s40, s1
	s_cbranch_execz .LBB12_35
.LBB12_67:                              ;   in Loop: Header=BB12_33 Depth=1
	ds_read_b32 v9, v1 offset:8196
	s_waitcnt lgkmcnt(0)
	v_add_nc_u32_e32 v8, v9, v8
	s_or_b32 exec_lo, exec_lo, s40
	s_and_saveexec_b32 s40, s2
	s_cbranch_execz .LBB12_36
.LBB12_68:                              ;   in Loop: Header=BB12_33 Depth=1
	ds_read_b32 v9, v1 offset:8200
	s_waitcnt lgkmcnt(0)
	v_add_nc_u32_e32 v8, v9, v8
	s_or_b32 exec_lo, exec_lo, s40
	s_and_saveexec_b32 s40, s3
	s_cbranch_execz .LBB12_37
.LBB12_69:                              ;   in Loop: Header=BB12_33 Depth=1
	ds_read_b32 v9, v1 offset:8204
	s_waitcnt lgkmcnt(0)
	v_add_nc_u32_e32 v8, v9, v8
	s_or_b32 exec_lo, exec_lo, s40
	s_and_saveexec_b32 s40, s4
	s_cbranch_execz .LBB12_38
.LBB12_70:                              ;   in Loop: Header=BB12_33 Depth=1
	ds_read_b32 v9, v1 offset:8208
	s_waitcnt lgkmcnt(0)
	v_add_nc_u32_e32 v8, v9, v8
	s_or_b32 exec_lo, exec_lo, s40
	s_and_saveexec_b32 s40, s5
	s_cbranch_execz .LBB12_39
.LBB12_71:                              ;   in Loop: Header=BB12_33 Depth=1
	ds_read_b32 v9, v1 offset:8212
	s_waitcnt lgkmcnt(0)
	v_add_nc_u32_e32 v8, v9, v8
	s_or_b32 exec_lo, exec_lo, s40
	s_and_saveexec_b32 s40, s6
	s_cbranch_execz .LBB12_40
.LBB12_72:                              ;   in Loop: Header=BB12_33 Depth=1
	ds_read_b32 v9, v1 offset:8216
	s_waitcnt lgkmcnt(0)
	v_add_nc_u32_e32 v8, v9, v8
	s_or_b32 exec_lo, exec_lo, s40
	s_and_saveexec_b32 s40, s7
	s_cbranch_execz .LBB12_41
.LBB12_73:                              ;   in Loop: Header=BB12_33 Depth=1
	ds_read_b32 v9, v1 offset:8220
	s_waitcnt lgkmcnt(0)
	v_add_nc_u32_e32 v8, v9, v8
	s_or_b32 exec_lo, exec_lo, s40
	s_and_saveexec_b32 s40, s8
	s_cbranch_execz .LBB12_42
.LBB12_74:                              ;   in Loop: Header=BB12_33 Depth=1
	ds_read_b32 v9, v1 offset:8224
	s_waitcnt lgkmcnt(0)
	v_add_nc_u32_e32 v8, v9, v8
	s_or_b32 exec_lo, exec_lo, s40
	s_and_saveexec_b32 s40, s9
	s_cbranch_execz .LBB12_43
.LBB12_75:                              ;   in Loop: Header=BB12_33 Depth=1
	ds_read_b32 v9, v1 offset:8228
	s_waitcnt lgkmcnt(0)
	v_add_nc_u32_e32 v8, v9, v8
	s_or_b32 exec_lo, exec_lo, s40
	s_and_saveexec_b32 s40, s10
	s_cbranch_execz .LBB12_44
.LBB12_76:                              ;   in Loop: Header=BB12_33 Depth=1
	ds_read_b32 v9, v1 offset:8232
	s_waitcnt lgkmcnt(0)
	v_add_nc_u32_e32 v8, v9, v8
	s_or_b32 exec_lo, exec_lo, s40
	s_and_saveexec_b32 s40, s11
	s_cbranch_execz .LBB12_45
.LBB12_77:                              ;   in Loop: Header=BB12_33 Depth=1
	ds_read_b32 v9, v1 offset:8236
	s_waitcnt lgkmcnt(0)
	v_add_nc_u32_e32 v8, v9, v8
	s_or_b32 exec_lo, exec_lo, s40
	s_and_saveexec_b32 s40, s12
	s_cbranch_execz .LBB12_46
.LBB12_78:                              ;   in Loop: Header=BB12_33 Depth=1
	ds_read_b32 v9, v1 offset:8240
	s_waitcnt lgkmcnt(0)
	v_add_nc_u32_e32 v8, v9, v8
	s_or_b32 exec_lo, exec_lo, s40
	s_and_saveexec_b32 s40, s13
	s_cbranch_execz .LBB12_47
.LBB12_79:                              ;   in Loop: Header=BB12_33 Depth=1
	ds_read_b32 v9, v1 offset:8244
	s_waitcnt lgkmcnt(0)
	v_add_nc_u32_e32 v8, v9, v8
	s_or_b32 exec_lo, exec_lo, s40
	s_and_saveexec_b32 s40, s14
	s_cbranch_execz .LBB12_48
.LBB12_80:                              ;   in Loop: Header=BB12_33 Depth=1
	ds_read_b32 v9, v1 offset:8248
	s_waitcnt lgkmcnt(0)
	v_add_nc_u32_e32 v8, v9, v8
	s_or_b32 exec_lo, exec_lo, s40
	s_and_saveexec_b32 s40, s15
	s_cbranch_execz .LBB12_49
.LBB12_81:                              ;   in Loop: Header=BB12_33 Depth=1
	ds_read_b32 v9, v1 offset:8252
	s_waitcnt lgkmcnt(0)
	v_add_nc_u32_e32 v8, v9, v8
	s_or_b32 exec_lo, exec_lo, s40
	s_and_saveexec_b32 s40, s16
	s_cbranch_execz .LBB12_50
.LBB12_82:                              ;   in Loop: Header=BB12_33 Depth=1
	ds_read_b32 v9, v1 offset:8256
	s_waitcnt lgkmcnt(0)
	v_add_nc_u32_e32 v8, v9, v8
	s_or_b32 exec_lo, exec_lo, s40
	s_and_saveexec_b32 s40, s17
	s_cbranch_execz .LBB12_51
.LBB12_83:                              ;   in Loop: Header=BB12_33 Depth=1
	ds_read_b32 v9, v1 offset:8260
	s_waitcnt lgkmcnt(0)
	v_add_nc_u32_e32 v8, v9, v8
	s_or_b32 exec_lo, exec_lo, s40
	s_and_saveexec_b32 s40, s18
	s_cbranch_execz .LBB12_52
.LBB12_84:                              ;   in Loop: Header=BB12_33 Depth=1
	ds_read_b32 v9, v1 offset:8264
	s_waitcnt lgkmcnt(0)
	v_add_nc_u32_e32 v8, v9, v8
	s_or_b32 exec_lo, exec_lo, s40
	s_and_saveexec_b32 s40, s19
	s_cbranch_execz .LBB12_53
.LBB12_85:                              ;   in Loop: Header=BB12_33 Depth=1
	ds_read_b32 v9, v1 offset:8268
	s_waitcnt lgkmcnt(0)
	v_add_nc_u32_e32 v8, v9, v8
	s_or_b32 exec_lo, exec_lo, s40
	s_and_saveexec_b32 s40, s20
	s_cbranch_execz .LBB12_54
.LBB12_86:                              ;   in Loop: Header=BB12_33 Depth=1
	ds_read_b32 v9, v1 offset:8272
	s_waitcnt lgkmcnt(0)
	v_add_nc_u32_e32 v8, v9, v8
	s_or_b32 exec_lo, exec_lo, s40
	s_and_saveexec_b32 s40, s21
	s_cbranch_execz .LBB12_55
.LBB12_87:                              ;   in Loop: Header=BB12_33 Depth=1
	ds_read_b32 v9, v1 offset:8276
	s_waitcnt lgkmcnt(0)
	v_add_nc_u32_e32 v8, v9, v8
	s_or_b32 exec_lo, exec_lo, s40
	s_and_saveexec_b32 s40, s22
	s_cbranch_execz .LBB12_56
.LBB12_88:                              ;   in Loop: Header=BB12_33 Depth=1
	ds_read_b32 v9, v1 offset:8280
	s_waitcnt lgkmcnt(0)
	v_add_nc_u32_e32 v8, v9, v8
	s_or_b32 exec_lo, exec_lo, s40
	s_and_saveexec_b32 s40, s23
	s_cbranch_execz .LBB12_57
.LBB12_89:                              ;   in Loop: Header=BB12_33 Depth=1
	ds_read_b32 v9, v1 offset:8284
	s_waitcnt lgkmcnt(0)
	v_add_nc_u32_e32 v8, v9, v8
	s_or_b32 exec_lo, exec_lo, s40
	s_and_saveexec_b32 s40, s24
	s_cbranch_execz .LBB12_58
.LBB12_90:                              ;   in Loop: Header=BB12_33 Depth=1
	ds_read_b32 v9, v1 offset:8288
	s_waitcnt lgkmcnt(0)
	v_add_nc_u32_e32 v8, v9, v8
	s_or_b32 exec_lo, exec_lo, s40
	s_and_saveexec_b32 s40, s25
	s_cbranch_execz .LBB12_59
.LBB12_91:                              ;   in Loop: Header=BB12_33 Depth=1
	ds_read_b32 v9, v1 offset:8292
	s_waitcnt lgkmcnt(0)
	v_add_nc_u32_e32 v8, v9, v8
	s_or_b32 exec_lo, exec_lo, s40
	s_and_saveexec_b32 s40, s26
	s_cbranch_execz .LBB12_60
.LBB12_92:                              ;   in Loop: Header=BB12_33 Depth=1
	ds_read_b32 v9, v1 offset:8296
	s_waitcnt lgkmcnt(0)
	v_add_nc_u32_e32 v8, v9, v8
	s_or_b32 exec_lo, exec_lo, s40
	s_and_saveexec_b32 s40, s27
	s_cbranch_execz .LBB12_61
.LBB12_93:                              ;   in Loop: Header=BB12_33 Depth=1
	ds_read_b32 v9, v1 offset:8300
	s_waitcnt lgkmcnt(0)
	v_add_nc_u32_e32 v8, v9, v8
	s_or_b32 exec_lo, exec_lo, s40
	s_and_saveexec_b32 s40, s28
	s_cbranch_execz .LBB12_62
.LBB12_94:                              ;   in Loop: Header=BB12_33 Depth=1
	ds_read_b32 v9, v1 offset:8304
	s_waitcnt lgkmcnt(0)
	v_add_nc_u32_e32 v8, v9, v8
	s_or_b32 exec_lo, exec_lo, s40
	s_and_saveexec_b32 s40, s29
	s_cbranch_execz .LBB12_63
.LBB12_95:                              ;   in Loop: Header=BB12_33 Depth=1
	ds_read_b32 v9, v1 offset:8308
	s_waitcnt lgkmcnt(0)
	v_add_nc_u32_e32 v8, v9, v8
	s_or_b32 exec_lo, exec_lo, s40
	s_and_saveexec_b32 s40, s30
	s_cbranch_execz .LBB12_64
.LBB12_96:                              ;   in Loop: Header=BB12_33 Depth=1
	ds_read_b32 v9, v1 offset:8312
	s_waitcnt lgkmcnt(0)
	v_add_nc_u32_e32 v8, v9, v8
	s_or_b32 exec_lo, exec_lo, s40
	s_and_saveexec_b32 s40, s31
	s_cbranch_execz .LBB12_65
.LBB12_97:                              ;   in Loop: Header=BB12_33 Depth=1
	v_lshlrev_b32_e32 v9, 2, v6
	v_lshlrev_b32_e32 v10, 2, v8
	v_add_nc_u32_e32 v9, 0, v9
	v_add3_u32 v9, v9, v10, -4
	ds_write_b32 v9, v7
	s_or_b32 exec_lo, exec_lo, s40
	s_and_saveexec_b32 s31, vcc_lo
	s_cbranch_execz .LBB12_32
.LBB12_98:                              ;   in Loop: Header=BB12_33 Depth=1
	ds_write_b32 v1, v8 offset:8316
	s_branch .LBB12_32
.LBB12_99:
	s_or_b32 exec_lo, exec_lo, s35
	s_ashr_i32 s35, s34, 31
	s_mov_b32 s3, exec_lo
	s_lshl_b64 s[0:1], s[34:35], 2
	s_add_u32 s0, s36, s0
	s_addc_u32 s1, s37, s1
	s_load_dwordx2 s[0:1], s[0:1], 0x0
	s_waitcnt lgkmcnt(0)
	s_sub_i32 s2, s1, s0
	v_cmpx_gt_i32_e64 s2, v0
	s_cbranch_execz .LBB12_109
; %bb.100:
	s_sub_i32 s3, s0, s42
	s_sub_i32 s0, s0, s1
	s_and_b32 s1, s2, 7
	s_cmp_lt_u32 s0, -7
	s_mov_b32 s7, 0
	s_cselect_b32 s4, -1, 0
	s_and_b32 s5, s2, -8
	s_cmp_lg_u32 s1, 0
	s_cselect_b32 s6, -1, 0
	s_branch .LBB12_102
.LBB12_101:                             ;   in Loop: Header=BB12_102 Depth=1
	v_ashrrev_i32_e32 v2, 31, v1
	v_add_nc_u32_e32 v0, 0x400, v0
	s_waitcnt lgkmcnt(0)
	v_add_nc_u32_e32 v3, s42, v3
	v_lshlrev_b64 v[1:2], 2, v[1:2]
	v_cmp_le_i32_e32 vcc_lo, s2, v0
	s_or_b32 s7, vcc_lo, s7
	v_add_co_u32 v1, s0, s38, v1
	v_add_co_ci_u32_e64 v2, null, s39, v2, s0
	global_store_dword v[1:2], v3, off
	s_andn2_b32 exec_lo, exec_lo, s7
	s_cbranch_execz .LBB12_109
.LBB12_102:                             ; =>This Loop Header: Depth=1
                                        ;     Child Loop BB12_104 Depth 2
                                        ;     Child Loop BB12_108 Depth 2
	v_lshl_add_u32 v1, v0, 2, 0
	s_andn2_b32 vcc_lo, exec_lo, s4
	s_mov_b32 s0, 0
	ds_read_b32 v3, v1
	v_mov_b32_e32 v1, s3
	s_cbranch_vccnz .LBB12_106
; %bb.103:                              ;   in Loop: Header=BB12_102 Depth=1
	v_mov_b32_e32 v1, s3
	s_mov_b32 s8, 0
	s_inst_prefetch 0x1
	.p2align	6
.LBB12_104:                             ;   Parent Loop BB12_102 Depth=1
                                        ; =>  This Inner Loop Header: Depth=2
	v_mov_b32_e32 v2, s8
	s_add_i32 s0, s0, 8
	s_add_i32 s8, s8, 32
	s_cmp_eq_u32 s5, s0
	ds_read2_b32 v[4:5], v2 offset1:1
	ds_read2_b32 v[6:7], v2 offset0:2 offset1:3
	ds_read2_b32 v[8:9], v2 offset0:4 offset1:5
	;; [unrolled: 1-line block ×3, first 2 shown]
	s_waitcnt lgkmcnt(3)
	v_cmp_gt_i32_e32 vcc_lo, v3, v4
	v_cndmask_b32_e64 v2, 0, 1, vcc_lo
	s_waitcnt lgkmcnt(2)
	v_cmp_gt_i32_e32 vcc_lo, v3, v6
	v_cndmask_b32_e64 v4, 0, 1, vcc_lo
	v_cmp_gt_i32_e32 vcc_lo, v3, v5
	v_add_co_ci_u32_e64 v1, null, v1, v2, vcc_lo
	s_waitcnt lgkmcnt(1)
	v_cmp_gt_i32_e32 vcc_lo, v3, v8
	v_cndmask_b32_e64 v2, 0, 1, vcc_lo
	v_cmp_gt_i32_e32 vcc_lo, v3, v7
	v_add_co_ci_u32_e64 v1, null, v1, v4, vcc_lo
	;; [unrolled: 5-line block ×3, first 2 shown]
	v_cmp_gt_i32_e32 vcc_lo, v3, v11
	v_add_co_ci_u32_e64 v1, null, v1, v4, vcc_lo
	s_cbranch_scc0 .LBB12_104
; %bb.105:                              ;   in Loop: Header=BB12_102 Depth=1
	s_inst_prefetch 0x2
	s_mov_b32 s0, s5
.LBB12_106:                             ;   in Loop: Header=BB12_102 Depth=1
	s_andn2_b32 vcc_lo, exec_lo, s6
	s_cbranch_vccnz .LBB12_101
; %bb.107:                              ;   in Loop: Header=BB12_102 Depth=1
	s_lshl_b32 s0, s0, 2
	s_mov_b32 s8, s1
	s_add_i32 s0, s0, 0
.LBB12_108:                             ;   Parent Loop BB12_102 Depth=1
                                        ; =>  This Inner Loop Header: Depth=2
	v_mov_b32_e32 v2, s0
	s_add_i32 s8, s8, -1
	s_add_i32 s0, s0, 4
	s_cmp_lg_u32 s8, 0
	ds_read_b32 v2, v2
	s_waitcnt lgkmcnt(0)
	v_cmp_gt_i32_e32 vcc_lo, v3, v2
	v_add_co_ci_u32_e64 v1, null, 0, v1, vcc_lo
	s_cbranch_scc1 .LBB12_108
	s_branch .LBB12_101
.LBB12_109:
	s_endpgm
	.section	.rodata,"a",@progbits
	.p2align	6, 0x0
	.amdhsa_kernel _ZN9rocsparseL35csrgemm_symbolic_fill_block_per_rowILj1024ELj32ELj2048ELj137ELj32EiiEEvT5_PKS1_S3_PKT4_S3_S6_S3_S6_S3_S6_PS1_21rocsparse_index_base_S8_S8_S8_bb
		.amdhsa_group_segment_fixed_size 0
		.amdhsa_private_segment_fixed_size 0
		.amdhsa_kernarg_size 108
		.amdhsa_user_sgpr_count 6
		.amdhsa_user_sgpr_private_segment_buffer 1
		.amdhsa_user_sgpr_dispatch_ptr 0
		.amdhsa_user_sgpr_queue_ptr 0
		.amdhsa_user_sgpr_kernarg_segment_ptr 1
		.amdhsa_user_sgpr_dispatch_id 0
		.amdhsa_user_sgpr_flat_scratch_init 0
		.amdhsa_user_sgpr_private_segment_size 0
		.amdhsa_wavefront_size32 1
		.amdhsa_uses_dynamic_stack 0
		.amdhsa_system_sgpr_private_segment_wavefront_offset 0
		.amdhsa_system_sgpr_workgroup_id_x 1
		.amdhsa_system_sgpr_workgroup_id_y 0
		.amdhsa_system_sgpr_workgroup_id_z 0
		.amdhsa_system_sgpr_workgroup_info 0
		.amdhsa_system_vgpr_workitem_id 0
		.amdhsa_next_free_vgpr 12
		.amdhsa_next_free_sgpr 44
		.amdhsa_reserve_vcc 1
		.amdhsa_reserve_flat_scratch 0
		.amdhsa_float_round_mode_32 0
		.amdhsa_float_round_mode_16_64 0
		.amdhsa_float_denorm_mode_32 3
		.amdhsa_float_denorm_mode_16_64 3
		.amdhsa_dx10_clamp 1
		.amdhsa_ieee_mode 1
		.amdhsa_fp16_overflow 0
		.amdhsa_workgroup_processor_mode 1
		.amdhsa_memory_ordered 1
		.amdhsa_forward_progress 1
		.amdhsa_shared_vgpr_count 0
		.amdhsa_exception_fp_ieee_invalid_op 0
		.amdhsa_exception_fp_denorm_src 0
		.amdhsa_exception_fp_ieee_div_zero 0
		.amdhsa_exception_fp_ieee_overflow 0
		.amdhsa_exception_fp_ieee_underflow 0
		.amdhsa_exception_fp_ieee_inexact 0
		.amdhsa_exception_int_div_zero 0
	.end_amdhsa_kernel
	.section	.text._ZN9rocsparseL35csrgemm_symbolic_fill_block_per_rowILj1024ELj32ELj2048ELj137ELj32EiiEEvT5_PKS1_S3_PKT4_S3_S6_S3_S6_S3_S6_PS1_21rocsparse_index_base_S8_S8_S8_bb,"axG",@progbits,_ZN9rocsparseL35csrgemm_symbolic_fill_block_per_rowILj1024ELj32ELj2048ELj137ELj32EiiEEvT5_PKS1_S3_PKT4_S3_S6_S3_S6_S3_S6_PS1_21rocsparse_index_base_S8_S8_S8_bb,comdat
.Lfunc_end12:
	.size	_ZN9rocsparseL35csrgemm_symbolic_fill_block_per_rowILj1024ELj32ELj2048ELj137ELj32EiiEEvT5_PKS1_S3_PKT4_S3_S6_S3_S6_S3_S6_PS1_21rocsparse_index_base_S8_S8_S8_bb, .Lfunc_end12-_ZN9rocsparseL35csrgemm_symbolic_fill_block_per_rowILj1024ELj32ELj2048ELj137ELj32EiiEEvT5_PKS1_S3_PKT4_S3_S6_S3_S6_S3_S6_PS1_21rocsparse_index_base_S8_S8_S8_bb
                                        ; -- End function
	.set _ZN9rocsparseL35csrgemm_symbolic_fill_block_per_rowILj1024ELj32ELj2048ELj137ELj32EiiEEvT5_PKS1_S3_PKT4_S3_S6_S3_S6_S3_S6_PS1_21rocsparse_index_base_S8_S8_S8_bb.num_vgpr, 12
	.set _ZN9rocsparseL35csrgemm_symbolic_fill_block_per_rowILj1024ELj32ELj2048ELj137ELj32EiiEEvT5_PKS1_S3_PKT4_S3_S6_S3_S6_S3_S6_PS1_21rocsparse_index_base_S8_S8_S8_bb.num_agpr, 0
	.set _ZN9rocsparseL35csrgemm_symbolic_fill_block_per_rowILj1024ELj32ELj2048ELj137ELj32EiiEEvT5_PKS1_S3_PKT4_S3_S6_S3_S6_S3_S6_PS1_21rocsparse_index_base_S8_S8_S8_bb.numbered_sgpr, 44
	.set _ZN9rocsparseL35csrgemm_symbolic_fill_block_per_rowILj1024ELj32ELj2048ELj137ELj32EiiEEvT5_PKS1_S3_PKT4_S3_S6_S3_S6_S3_S6_PS1_21rocsparse_index_base_S8_S8_S8_bb.num_named_barrier, 0
	.set _ZN9rocsparseL35csrgemm_symbolic_fill_block_per_rowILj1024ELj32ELj2048ELj137ELj32EiiEEvT5_PKS1_S3_PKT4_S3_S6_S3_S6_S3_S6_PS1_21rocsparse_index_base_S8_S8_S8_bb.private_seg_size, 0
	.set _ZN9rocsparseL35csrgemm_symbolic_fill_block_per_rowILj1024ELj32ELj2048ELj137ELj32EiiEEvT5_PKS1_S3_PKT4_S3_S6_S3_S6_S3_S6_PS1_21rocsparse_index_base_S8_S8_S8_bb.uses_vcc, 1
	.set _ZN9rocsparseL35csrgemm_symbolic_fill_block_per_rowILj1024ELj32ELj2048ELj137ELj32EiiEEvT5_PKS1_S3_PKT4_S3_S6_S3_S6_S3_S6_PS1_21rocsparse_index_base_S8_S8_S8_bb.uses_flat_scratch, 0
	.set _ZN9rocsparseL35csrgemm_symbolic_fill_block_per_rowILj1024ELj32ELj2048ELj137ELj32EiiEEvT5_PKS1_S3_PKT4_S3_S6_S3_S6_S3_S6_PS1_21rocsparse_index_base_S8_S8_S8_bb.has_dyn_sized_stack, 0
	.set _ZN9rocsparseL35csrgemm_symbolic_fill_block_per_rowILj1024ELj32ELj2048ELj137ELj32EiiEEvT5_PKS1_S3_PKT4_S3_S6_S3_S6_S3_S6_PS1_21rocsparse_index_base_S8_S8_S8_bb.has_recursion, 0
	.set _ZN9rocsparseL35csrgemm_symbolic_fill_block_per_rowILj1024ELj32ELj2048ELj137ELj32EiiEEvT5_PKS1_S3_PKT4_S3_S6_S3_S6_S3_S6_PS1_21rocsparse_index_base_S8_S8_S8_bb.has_indirect_call, 0
	.section	.AMDGPU.csdata,"",@progbits
; Kernel info:
; codeLenInByte = 3508
; TotalNumSgprs: 46
; NumVgprs: 12
; ScratchSize: 0
; MemoryBound: 0
; FloatMode: 240
; IeeeMode: 1
; LDSByteSize: 0 bytes/workgroup (compile time only)
; SGPRBlocks: 0
; VGPRBlocks: 1
; NumSGPRsForWavesPerEU: 46
; NumVGPRsForWavesPerEU: 12
; Occupancy: 16
; WaveLimiterHint : 1
; COMPUTE_PGM_RSRC2:SCRATCH_EN: 0
; COMPUTE_PGM_RSRC2:USER_SGPR: 6
; COMPUTE_PGM_RSRC2:TRAP_HANDLER: 0
; COMPUTE_PGM_RSRC2:TGID_X_EN: 1
; COMPUTE_PGM_RSRC2:TGID_Y_EN: 0
; COMPUTE_PGM_RSRC2:TGID_Z_EN: 0
; COMPUTE_PGM_RSRC2:TIDIG_COMP_CNT: 0
	.section	.text._ZN9rocsparseL35csrgemm_symbolic_fill_block_per_rowILj1024ELj32ELj2048ELj137ELj64EiiEEvT5_PKS1_S3_PKT4_S3_S6_S3_S6_S3_S6_PS1_21rocsparse_index_base_S8_S8_S8_bb,"axG",@progbits,_ZN9rocsparseL35csrgemm_symbolic_fill_block_per_rowILj1024ELj32ELj2048ELj137ELj64EiiEEvT5_PKS1_S3_PKT4_S3_S6_S3_S6_S3_S6_PS1_21rocsparse_index_base_S8_S8_S8_bb,comdat
	.globl	_ZN9rocsparseL35csrgemm_symbolic_fill_block_per_rowILj1024ELj32ELj2048ELj137ELj64EiiEEvT5_PKS1_S3_PKT4_S3_S6_S3_S6_S3_S6_PS1_21rocsparse_index_base_S8_S8_S8_bb ; -- Begin function _ZN9rocsparseL35csrgemm_symbolic_fill_block_per_rowILj1024ELj32ELj2048ELj137ELj64EiiEEvT5_PKS1_S3_PKT4_S3_S6_S3_S6_S3_S6_PS1_21rocsparse_index_base_S8_S8_S8_bb
	.p2align	8
	.type	_ZN9rocsparseL35csrgemm_symbolic_fill_block_per_rowILj1024ELj32ELj2048ELj137ELj64EiiEEvT5_PKS1_S3_PKT4_S3_S6_S3_S6_S3_S6_PS1_21rocsparse_index_base_S8_S8_S8_bb,@function
_ZN9rocsparseL35csrgemm_symbolic_fill_block_per_rowILj1024ELj32ELj2048ELj137ELj64EiiEEvT5_PKS1_S3_PKT4_S3_S6_S3_S6_S3_S6_PS1_21rocsparse_index_base_S8_S8_S8_bb: ; @_ZN9rocsparseL35csrgemm_symbolic_fill_block_per_rowILj1024ELj32ELj2048ELj137ELj64EiiEEvT5_PKS1_S3_PKT4_S3_S6_S3_S6_S3_S6_PS1_21rocsparse_index_base_S8_S8_S8_bb
; %bb.0:
	s_clause 0x3
	s_load_dword s30, s[4:5], 0x0
	s_load_dwordx4 s[24:27], s[4:5], 0x48
	s_load_dwordx8 s[8:15], s[4:5], 0x28
	s_load_dwordx8 s[16:23], s[4:5], 0x8
	v_lshl_add_u32 v4, v0, 2, 0
	v_or_b32_e32 v5, 0xfffffc00, v0
	s_mov_b32 s0, 0
	v_mov_b32_e32 v1, v4
	v_mov_b32_e32 v3, v5
	s_waitcnt lgkmcnt(0)
	v_mov_b32_e32 v2, s30
.LBB13_1:                               ; =>This Inner Loop Header: Depth=1
	v_add_co_u32 v3, s1, 0x400, v3
	s_xor_b32 s1, s1, -1
	ds_write_b32 v1, v2
	v_add_nc_u32_e32 v1, 0x1000, v1
	s_and_b32 s1, exec_lo, s1
	s_or_b32 s0, s1, s0
	s_andn2_b32 exec_lo, exec_lo, s0
	s_cbranch_execnz .LBB13_1
; %bb.2:
	s_or_b32 exec_lo, exec_lo, s0
	s_load_dword s0, s[4:5], 0x68
	s_waitcnt lgkmcnt(0)
	s_barrier
	buffer_gl0_inv
	s_load_dword s1, s[16:17], 0x0
	s_mov_b32 s3, 0
	s_bitcmp1_b32 s0, 0
	s_cselect_b32 s7, -1, 0
	s_waitcnt lgkmcnt(0)
	s_add_i32 s2, s1, s6
	s_lshl_b64 s[2:3], s[2:3], 2
	s_add_u32 s2, s18, s2
	s_addc_u32 s3, s19, s3
	s_load_dwordx4 s[16:19], s[4:5], 0x58
	s_load_dword s28, s[2:3], 0x0
	s_and_b32 vcc_lo, exec_lo, s7
	s_cbranch_vccz .LBB13_18
; %bb.3:
	s_waitcnt lgkmcnt(0)
	s_ashr_i32 s29, s28, 31
	v_lshrrev_b32_e32 v1, 5, v0
	s_lshl_b64 s[2:3], s[28:29], 2
	s_add_u32 s2, s20, s2
	s_addc_u32 s3, s21, s3
	v_subrev_nc_u32_e32 v1, s16, v1
	s_load_dwordx2 s[2:3], s[2:3], 0x0
	s_waitcnt lgkmcnt(0)
	v_add_nc_u32_e32 v1, s2, v1
	s_sub_i32 s1, s3, s16
	s_mov_b32 s2, exec_lo
	v_cmpx_gt_i32_e64 s1, v1
	s_cbranch_execz .LBB13_17
; %bb.4:
	v_and_b32_e32 v2, 31, v0
	s_mov_b32 s3, 0
	v_subrev_nc_u32_e32 v6, s17, v2
	s_branch .LBB13_6
.LBB13_5:                               ;   in Loop: Header=BB13_6 Depth=1
	s_or_b32 exec_lo, exec_lo, s4
	v_add_nc_u32_e32 v1, 32, v1
	v_cmp_le_i32_e32 vcc_lo, s1, v1
	s_or_b32 s3, vcc_lo, s3
	s_andn2_b32 exec_lo, exec_lo, s3
	s_cbranch_execz .LBB13_17
.LBB13_6:                               ; =>This Loop Header: Depth=1
                                        ;     Child Loop BB13_9 Depth 2
                                        ;       Child Loop BB13_12 Depth 3
	v_ashrrev_i32_e32 v2, 31, v1
	s_mov_b32 s4, exec_lo
	v_lshlrev_b64 v[2:3], 2, v[1:2]
	v_add_co_u32 v2, vcc_lo, s22, v2
	v_add_co_ci_u32_e64 v3, null, s23, v3, vcc_lo
	global_load_dword v2, v[2:3], off
	s_waitcnt vmcnt(0)
	v_subrev_nc_u32_e32 v2, s16, v2
	v_ashrrev_i32_e32 v3, 31, v2
	v_lshlrev_b64 v[2:3], 2, v[2:3]
	v_add_co_u32 v2, vcc_lo, s8, v2
	v_add_co_ci_u32_e64 v3, null, s9, v3, vcc_lo
	global_load_dwordx2 v[2:3], v[2:3], off
	s_waitcnt vmcnt(0)
	v_subrev_nc_u32_e32 v7, s17, v3
	v_add_nc_u32_e32 v2, v2, v6
	v_cmpx_lt_i32_e64 v2, v7
	s_cbranch_execz .LBB13_5
; %bb.7:                                ;   in Loop: Header=BB13_6 Depth=1
	s_mov_b32 s5, 0
	s_branch .LBB13_9
.LBB13_8:                               ;   in Loop: Header=BB13_9 Depth=2
	s_inst_prefetch 0x2
	s_or_b32 exec_lo, exec_lo, s6
	v_add_nc_u32_e32 v2, 32, v2
	v_cmp_ge_i32_e32 vcc_lo, v2, v7
	s_or_b32 s5, vcc_lo, s5
	s_andn2_b32 exec_lo, exec_lo, s5
	s_cbranch_execz .LBB13_5
.LBB13_9:                               ;   Parent Loop BB13_6 Depth=1
                                        ; =>  This Loop Header: Depth=2
                                        ;       Child Loop BB13_12 Depth 3
	v_ashrrev_i32_e32 v3, 31, v2
	s_mov_b32 s6, 0
                                        ; implicit-def: $sgpr7
	v_lshlrev_b64 v[8:9], 2, v[2:3]
	v_add_co_u32 v8, vcc_lo, s10, v8
	v_add_co_ci_u32_e64 v9, null, s11, v9, vcc_lo
	global_load_dword v3, v[8:9], off
	s_waitcnt vmcnt(0)
	v_subrev_nc_u32_e32 v3, s17, v3
	v_mul_lo_u32 v8, 0x89, v3
	v_and_b32_e32 v8, 0x7ff, v8
	s_inst_prefetch 0x1
	s_branch .LBB13_12
	.p2align	6
.LBB13_10:                              ;   in Loop: Header=BB13_12 Depth=3
	s_or_b32 exec_lo, exec_lo, s21
	s_andn2_b32 s7, s7, exec_lo
	s_and_b32 s21, s29, exec_lo
	s_or_b32 s7, s7, s21
.LBB13_11:                              ;   in Loop: Header=BB13_12 Depth=3
	s_or_b32 exec_lo, exec_lo, s20
	s_xor_b32 s20, s7, -1
	s_and_b32 s20, exec_lo, s20
	s_or_b32 s6, s20, s6
	s_andn2_b32 exec_lo, exec_lo, s6
	s_cbranch_execz .LBB13_8
.LBB13_12:                              ;   Parent Loop BB13_6 Depth=1
                                        ;     Parent Loop BB13_9 Depth=2
                                        ; =>    This Inner Loop Header: Depth=3
	v_lshl_add_u32 v9, v8, 2, 0
	s_andn2_b32 s7, s7, exec_lo
	s_mov_b32 s20, exec_lo
	ds_read_b32 v10, v9
	s_waitcnt lgkmcnt(0)
	v_cmpx_ne_u32_e64 v10, v3
	s_cbranch_execz .LBB13_11
; %bb.13:                               ;   in Loop: Header=BB13_12 Depth=3
	s_mov_b32 s21, exec_lo
	v_cmpx_ne_u32_e64 s30, v10
	s_xor_b32 s21, exec_lo, s21
; %bb.14:                               ;   in Loop: Header=BB13_12 Depth=3
	v_add_nc_u32_e32 v8, 1, v8
                                        ; implicit-def: $vgpr9
	v_and_b32_e32 v8, 0x7ff, v8
; %bb.15:                               ;   in Loop: Header=BB13_12 Depth=3
	s_or_saveexec_b32 s21, s21
	s_mov_b32 s29, -1
	s_xor_b32 exec_lo, exec_lo, s21
	s_cbranch_execz .LBB13_10
; %bb.16:                               ;   in Loop: Header=BB13_12 Depth=3
	v_mov_b32_e32 v10, s30
	ds_cmpst_rtn_b32 v9, v9, v10, v3
	s_waitcnt lgkmcnt(0)
	v_cmp_ne_u32_e32 vcc_lo, s30, v9
	s_orn2_b32 s29, vcc_lo, exec_lo
	s_branch .LBB13_10
.LBB13_17:
	s_or_b32 exec_lo, exec_lo, s2
.LBB13_18:
	s_bfe_u32 s0, s0, 0x10008
	s_cmp_eq_u32 s0, 0
	s_cbranch_scc1 .LBB13_31
; %bb.19:
	s_waitcnt lgkmcnt(0)
	s_ashr_i32 s29, s28, 31
	v_subrev_nc_u32_e32 v1, s19, v0
	s_lshl_b64 s[0:1], s[28:29], 2
	s_add_u32 s0, s12, s0
	s_addc_u32 s1, s13, s1
	s_load_dwordx2 s[0:1], s[0:1], 0x0
	s_waitcnt lgkmcnt(0)
	v_add_nc_u32_e32 v1, s0, v1
	s_sub_i32 s0, s1, s19
	s_mov_b32 s1, exec_lo
	v_cmpx_gt_i32_e64 s0, v1
	s_cbranch_execz .LBB13_30
; %bb.20:
	s_mov_b32 s2, 0
	s_branch .LBB13_22
.LBB13_21:                              ;   in Loop: Header=BB13_22 Depth=1
	s_inst_prefetch 0x2
	s_or_b32 exec_lo, exec_lo, s3
	v_add_nc_u32_e32 v1, 0x400, v1
	v_cmp_le_i32_e32 vcc_lo, s0, v1
	s_or_b32 s2, vcc_lo, s2
	s_andn2_b32 exec_lo, exec_lo, s2
	s_cbranch_execz .LBB13_30
.LBB13_22:                              ; =>This Loop Header: Depth=1
                                        ;     Child Loop BB13_25 Depth 2
	v_ashrrev_i32_e32 v2, 31, v1
	s_mov_b32 s3, 0
                                        ; implicit-def: $sgpr4
	v_lshlrev_b64 v[2:3], 2, v[1:2]
	v_add_co_u32 v2, vcc_lo, s14, v2
	v_add_co_ci_u32_e64 v3, null, s15, v3, vcc_lo
	global_load_dword v2, v[2:3], off
	s_waitcnt vmcnt(0)
	v_subrev_nc_u32_e32 v2, s19, v2
	v_mul_lo_u32 v3, 0x89, v2
	v_and_b32_e32 v3, 0x7ff, v3
	s_inst_prefetch 0x1
	s_branch .LBB13_25
	.p2align	6
.LBB13_23:                              ;   in Loop: Header=BB13_25 Depth=2
	s_or_b32 exec_lo, exec_lo, s6
	s_andn2_b32 s4, s4, exec_lo
	s_and_b32 s6, s7, exec_lo
	s_or_b32 s4, s4, s6
.LBB13_24:                              ;   in Loop: Header=BB13_25 Depth=2
	s_or_b32 exec_lo, exec_lo, s5
	s_xor_b32 s5, s4, -1
	s_and_b32 s5, exec_lo, s5
	s_or_b32 s3, s5, s3
	s_andn2_b32 exec_lo, exec_lo, s3
	s_cbranch_execz .LBB13_21
.LBB13_25:                              ;   Parent Loop BB13_22 Depth=1
                                        ; =>  This Inner Loop Header: Depth=2
	v_lshl_add_u32 v6, v3, 2, 0
	s_andn2_b32 s4, s4, exec_lo
	s_mov_b32 s5, exec_lo
	ds_read_b32 v7, v6
	s_waitcnt lgkmcnt(0)
	v_cmpx_ne_u32_e64 v7, v2
	s_cbranch_execz .LBB13_24
; %bb.26:                               ;   in Loop: Header=BB13_25 Depth=2
	s_mov_b32 s6, exec_lo
	v_cmpx_ne_u32_e64 s30, v7
	s_xor_b32 s6, exec_lo, s6
; %bb.27:                               ;   in Loop: Header=BB13_25 Depth=2
	v_add_nc_u32_e32 v3, 1, v3
                                        ; implicit-def: $vgpr6
	v_and_b32_e32 v3, 0x7ff, v3
; %bb.28:                               ;   in Loop: Header=BB13_25 Depth=2
	s_or_saveexec_b32 s6, s6
	s_mov_b32 s7, -1
	s_xor_b32 exec_lo, exec_lo, s6
	s_cbranch_execz .LBB13_23
; %bb.29:                               ;   in Loop: Header=BB13_25 Depth=2
	v_mov_b32_e32 v7, s30
	ds_cmpst_rtn_b32 v6, v6, v7, v2
	s_waitcnt lgkmcnt(0)
	v_cmp_ne_u32_e32 vcc_lo, s30, v6
	s_orn2_b32 s7, vcc_lo, exec_lo
	s_branch .LBB13_23
.LBB13_30:
	s_or_b32 exec_lo, exec_lo, s1
.LBB13_31:
	v_mbcnt_lo_u32_b32 v2, -1, 0
	v_lshrrev_b32_e32 v3, 4, v0
	v_mov_b32_e32 v1, 0
	v_cmp_lt_u32_e64 s0, 63, v0
	v_cmp_lt_u32_e64 s1, 0x7f, v0
	v_xor_b32_e32 v2, 31, v2
	v_and_b32_e32 v3, 60, v3
	v_cmp_lt_u32_e64 s2, 0xbf, v0
	v_cmp_lt_u32_e64 s3, 0xff, v0
	;; [unrolled: 1-line block ×3, first 2 shown]
	v_lshrrev_b32_e64 v2, v2, -1
	v_add_nc_u32_e32 v3, 0, v3
	v_cmp_lt_u32_e64 s5, 0x17f, v0
	v_cmp_lt_u32_e64 s6, 0x1bf, v0
	;; [unrolled: 1-line block ×10, first 2 shown]
	v_mov_b32_e32 v6, 0
	s_waitcnt lgkmcnt(0)
	s_mov_b32 s16, 0
	v_cmp_eq_u32_e32 vcc_lo, 0x3ff, v0
	s_barrier
	buffer_gl0_inv
	s_branch .LBB13_33
.LBB13_32:                              ;   in Loop: Header=BB13_33 Depth=1
	s_or_b32 exec_lo, exec_lo, s15
	s_waitcnt lgkmcnt(0)
	s_barrier
	buffer_gl0_inv
	ds_read_b32 v7, v1 offset:8252
	v_add_co_u32 v5, s15, 0x400, v5
	s_xor_b32 s15, s15, -1
	v_add_nc_u32_e32 v4, 0x1000, v4
	s_and_b32 s15, exec_lo, s15
	s_or_b32 s16, s15, s16
	s_waitcnt lgkmcnt(0)
	v_add_nc_u32_e32 v6, v7, v6
	s_andn2_b32 exec_lo, exec_lo, s16
	s_cbranch_execz .LBB13_67
.LBB13_33:                              ; =>This Inner Loop Header: Depth=1
	ds_read_b32 v7, v4
	s_waitcnt lgkmcnt(0)
	s_barrier
	buffer_gl0_inv
	v_cmp_gt_i32_e64 s15, s30, v7
	v_and_b32_e32 v8, s15, v2
	s_bcnt1_i32_b32 s17, s15
	v_mov_b32_e32 v9, s17
	v_bcnt_u32_b32 v8, v8, 0
	ds_write_b32 v3, v9 offset:8192
	s_waitcnt lgkmcnt(0)
	s_barrier
	buffer_gl0_inv
	s_and_saveexec_b32 s17, s0
	s_cbranch_execnz .LBB13_50
; %bb.34:                               ;   in Loop: Header=BB13_33 Depth=1
	s_or_b32 exec_lo, exec_lo, s17
	s_and_saveexec_b32 s17, s1
	s_cbranch_execnz .LBB13_51
.LBB13_35:                              ;   in Loop: Header=BB13_33 Depth=1
	s_or_b32 exec_lo, exec_lo, s17
	s_and_saveexec_b32 s17, s2
	s_cbranch_execnz .LBB13_52
.LBB13_36:                              ;   in Loop: Header=BB13_33 Depth=1
	s_or_b32 exec_lo, exec_lo, s17
	s_and_saveexec_b32 s17, s3
	s_cbranch_execnz .LBB13_53
.LBB13_37:                              ;   in Loop: Header=BB13_33 Depth=1
	s_or_b32 exec_lo, exec_lo, s17
	s_and_saveexec_b32 s17, s4
	s_cbranch_execnz .LBB13_54
.LBB13_38:                              ;   in Loop: Header=BB13_33 Depth=1
	s_or_b32 exec_lo, exec_lo, s17
	s_and_saveexec_b32 s17, s5
	s_cbranch_execnz .LBB13_55
.LBB13_39:                              ;   in Loop: Header=BB13_33 Depth=1
	s_or_b32 exec_lo, exec_lo, s17
	s_and_saveexec_b32 s17, s6
	s_cbranch_execnz .LBB13_56
.LBB13_40:                              ;   in Loop: Header=BB13_33 Depth=1
	s_or_b32 exec_lo, exec_lo, s17
	s_and_saveexec_b32 s17, s7
	s_cbranch_execnz .LBB13_57
.LBB13_41:                              ;   in Loop: Header=BB13_33 Depth=1
	s_or_b32 exec_lo, exec_lo, s17
	s_and_saveexec_b32 s17, s8
	s_cbranch_execnz .LBB13_58
.LBB13_42:                              ;   in Loop: Header=BB13_33 Depth=1
	s_or_b32 exec_lo, exec_lo, s17
	s_and_saveexec_b32 s17, s9
	s_cbranch_execnz .LBB13_59
.LBB13_43:                              ;   in Loop: Header=BB13_33 Depth=1
	s_or_b32 exec_lo, exec_lo, s17
	s_and_saveexec_b32 s17, s10
	s_cbranch_execnz .LBB13_60
.LBB13_44:                              ;   in Loop: Header=BB13_33 Depth=1
	s_or_b32 exec_lo, exec_lo, s17
	s_and_saveexec_b32 s17, s11
	s_cbranch_execnz .LBB13_61
.LBB13_45:                              ;   in Loop: Header=BB13_33 Depth=1
	s_or_b32 exec_lo, exec_lo, s17
	s_and_saveexec_b32 s17, s12
	s_cbranch_execnz .LBB13_62
.LBB13_46:                              ;   in Loop: Header=BB13_33 Depth=1
	s_or_b32 exec_lo, exec_lo, s17
	s_and_saveexec_b32 s17, s13
	s_cbranch_execnz .LBB13_63
.LBB13_47:                              ;   in Loop: Header=BB13_33 Depth=1
	s_or_b32 exec_lo, exec_lo, s17
	s_and_saveexec_b32 s17, s14
	s_cbranch_execnz .LBB13_64
.LBB13_48:                              ;   in Loop: Header=BB13_33 Depth=1
	s_or_b32 exec_lo, exec_lo, s17
	s_and_saveexec_b32 s17, s15
	s_cbranch_execnz .LBB13_65
.LBB13_49:                              ;   in Loop: Header=BB13_33 Depth=1
	s_or_b32 exec_lo, exec_lo, s17
	s_and_saveexec_b32 s15, vcc_lo
	s_cbranch_execz .LBB13_32
	s_branch .LBB13_66
.LBB13_50:                              ;   in Loop: Header=BB13_33 Depth=1
	ds_read_b32 v9, v1 offset:8192
	s_waitcnt lgkmcnt(0)
	v_add_nc_u32_e32 v8, v9, v8
	s_or_b32 exec_lo, exec_lo, s17
	s_and_saveexec_b32 s17, s1
	s_cbranch_execz .LBB13_35
.LBB13_51:                              ;   in Loop: Header=BB13_33 Depth=1
	ds_read_b32 v9, v1 offset:8196
	s_waitcnt lgkmcnt(0)
	v_add_nc_u32_e32 v8, v9, v8
	s_or_b32 exec_lo, exec_lo, s17
	s_and_saveexec_b32 s17, s2
	s_cbranch_execz .LBB13_36
.LBB13_52:                              ;   in Loop: Header=BB13_33 Depth=1
	ds_read_b32 v9, v1 offset:8200
	s_waitcnt lgkmcnt(0)
	v_add_nc_u32_e32 v8, v9, v8
	s_or_b32 exec_lo, exec_lo, s17
	s_and_saveexec_b32 s17, s3
	s_cbranch_execz .LBB13_37
.LBB13_53:                              ;   in Loop: Header=BB13_33 Depth=1
	ds_read_b32 v9, v1 offset:8204
	s_waitcnt lgkmcnt(0)
	v_add_nc_u32_e32 v8, v9, v8
	s_or_b32 exec_lo, exec_lo, s17
	s_and_saveexec_b32 s17, s4
	s_cbranch_execz .LBB13_38
.LBB13_54:                              ;   in Loop: Header=BB13_33 Depth=1
	ds_read_b32 v9, v1 offset:8208
	s_waitcnt lgkmcnt(0)
	v_add_nc_u32_e32 v8, v9, v8
	s_or_b32 exec_lo, exec_lo, s17
	s_and_saveexec_b32 s17, s5
	s_cbranch_execz .LBB13_39
.LBB13_55:                              ;   in Loop: Header=BB13_33 Depth=1
	ds_read_b32 v9, v1 offset:8212
	s_waitcnt lgkmcnt(0)
	v_add_nc_u32_e32 v8, v9, v8
	s_or_b32 exec_lo, exec_lo, s17
	s_and_saveexec_b32 s17, s6
	s_cbranch_execz .LBB13_40
.LBB13_56:                              ;   in Loop: Header=BB13_33 Depth=1
	ds_read_b32 v9, v1 offset:8216
	s_waitcnt lgkmcnt(0)
	v_add_nc_u32_e32 v8, v9, v8
	s_or_b32 exec_lo, exec_lo, s17
	s_and_saveexec_b32 s17, s7
	s_cbranch_execz .LBB13_41
.LBB13_57:                              ;   in Loop: Header=BB13_33 Depth=1
	ds_read_b32 v9, v1 offset:8220
	s_waitcnt lgkmcnt(0)
	v_add_nc_u32_e32 v8, v9, v8
	s_or_b32 exec_lo, exec_lo, s17
	s_and_saveexec_b32 s17, s8
	s_cbranch_execz .LBB13_42
.LBB13_58:                              ;   in Loop: Header=BB13_33 Depth=1
	ds_read_b32 v9, v1 offset:8224
	s_waitcnt lgkmcnt(0)
	v_add_nc_u32_e32 v8, v9, v8
	s_or_b32 exec_lo, exec_lo, s17
	s_and_saveexec_b32 s17, s9
	s_cbranch_execz .LBB13_43
.LBB13_59:                              ;   in Loop: Header=BB13_33 Depth=1
	ds_read_b32 v9, v1 offset:8228
	s_waitcnt lgkmcnt(0)
	v_add_nc_u32_e32 v8, v9, v8
	s_or_b32 exec_lo, exec_lo, s17
	s_and_saveexec_b32 s17, s10
	s_cbranch_execz .LBB13_44
.LBB13_60:                              ;   in Loop: Header=BB13_33 Depth=1
	ds_read_b32 v9, v1 offset:8232
	s_waitcnt lgkmcnt(0)
	v_add_nc_u32_e32 v8, v9, v8
	s_or_b32 exec_lo, exec_lo, s17
	s_and_saveexec_b32 s17, s11
	s_cbranch_execz .LBB13_45
.LBB13_61:                              ;   in Loop: Header=BB13_33 Depth=1
	ds_read_b32 v9, v1 offset:8236
	s_waitcnt lgkmcnt(0)
	v_add_nc_u32_e32 v8, v9, v8
	s_or_b32 exec_lo, exec_lo, s17
	s_and_saveexec_b32 s17, s12
	s_cbranch_execz .LBB13_46
.LBB13_62:                              ;   in Loop: Header=BB13_33 Depth=1
	ds_read_b32 v9, v1 offset:8240
	s_waitcnt lgkmcnt(0)
	v_add_nc_u32_e32 v8, v9, v8
	s_or_b32 exec_lo, exec_lo, s17
	s_and_saveexec_b32 s17, s13
	s_cbranch_execz .LBB13_47
.LBB13_63:                              ;   in Loop: Header=BB13_33 Depth=1
	ds_read_b32 v9, v1 offset:8244
	s_waitcnt lgkmcnt(0)
	v_add_nc_u32_e32 v8, v9, v8
	s_or_b32 exec_lo, exec_lo, s17
	s_and_saveexec_b32 s17, s14
	s_cbranch_execz .LBB13_48
.LBB13_64:                              ;   in Loop: Header=BB13_33 Depth=1
	ds_read_b32 v9, v1 offset:8248
	s_waitcnt lgkmcnt(0)
	v_add_nc_u32_e32 v8, v9, v8
	s_or_b32 exec_lo, exec_lo, s17
	s_and_saveexec_b32 s17, s15
	s_cbranch_execz .LBB13_49
.LBB13_65:                              ;   in Loop: Header=BB13_33 Depth=1
	v_lshlrev_b32_e32 v9, 2, v6
	v_lshlrev_b32_e32 v10, 2, v8
	v_add_nc_u32_e32 v9, 0, v9
	v_add3_u32 v9, v9, v10, -4
	ds_write_b32 v9, v7
	s_or_b32 exec_lo, exec_lo, s17
	s_and_saveexec_b32 s15, vcc_lo
	s_cbranch_execz .LBB13_32
.LBB13_66:                              ;   in Loop: Header=BB13_33 Depth=1
	ds_write_b32 v1, v8 offset:8252
	s_branch .LBB13_32
.LBB13_67:
	s_or_b32 exec_lo, exec_lo, s16
	s_ashr_i32 s29, s28, 31
	s_mov_b32 s3, exec_lo
	s_lshl_b64 s[0:1], s[28:29], 2
	s_add_u32 s0, s24, s0
	s_addc_u32 s1, s25, s1
	s_load_dwordx2 s[0:1], s[0:1], 0x0
	s_waitcnt lgkmcnt(0)
	s_sub_i32 s2, s1, s0
	v_cmpx_gt_i32_e64 s2, v0
	s_cbranch_execz .LBB13_77
; %bb.68:
	s_sub_i32 s3, s0, s18
	s_sub_i32 s0, s0, s1
	s_and_b32 s1, s2, 7
	s_cmp_lt_u32 s0, -7
	s_mov_b32 s7, 0
	s_cselect_b32 s4, -1, 0
	s_and_b32 s5, s2, -8
	s_cmp_lg_u32 s1, 0
	s_cselect_b32 s6, -1, 0
	s_branch .LBB13_70
.LBB13_69:                              ;   in Loop: Header=BB13_70 Depth=1
	v_ashrrev_i32_e32 v2, 31, v1
	v_add_nc_u32_e32 v0, 0x400, v0
	s_waitcnt lgkmcnt(0)
	v_add_nc_u32_e32 v3, s18, v3
	v_lshlrev_b64 v[1:2], 2, v[1:2]
	v_cmp_le_i32_e32 vcc_lo, s2, v0
	s_or_b32 s7, vcc_lo, s7
	v_add_co_u32 v1, s0, s26, v1
	v_add_co_ci_u32_e64 v2, null, s27, v2, s0
	global_store_dword v[1:2], v3, off
	s_andn2_b32 exec_lo, exec_lo, s7
	s_cbranch_execz .LBB13_77
.LBB13_70:                              ; =>This Loop Header: Depth=1
                                        ;     Child Loop BB13_72 Depth 2
                                        ;     Child Loop BB13_76 Depth 2
	v_lshl_add_u32 v1, v0, 2, 0
	s_andn2_b32 vcc_lo, exec_lo, s4
	s_mov_b32 s0, 0
	ds_read_b32 v3, v1
	v_mov_b32_e32 v1, s3
	s_cbranch_vccnz .LBB13_74
; %bb.71:                               ;   in Loop: Header=BB13_70 Depth=1
	v_mov_b32_e32 v1, s3
	s_mov_b32 s8, 0
	s_inst_prefetch 0x1
	.p2align	6
.LBB13_72:                              ;   Parent Loop BB13_70 Depth=1
                                        ; =>  This Inner Loop Header: Depth=2
	v_mov_b32_e32 v2, s8
	s_add_i32 s0, s0, 8
	s_add_i32 s8, s8, 32
	s_cmp_eq_u32 s5, s0
	ds_read2_b32 v[4:5], v2 offset1:1
	ds_read2_b32 v[6:7], v2 offset0:2 offset1:3
	ds_read2_b32 v[8:9], v2 offset0:4 offset1:5
	;; [unrolled: 1-line block ×3, first 2 shown]
	s_waitcnt lgkmcnt(3)
	v_cmp_gt_i32_e32 vcc_lo, v3, v4
	v_cndmask_b32_e64 v2, 0, 1, vcc_lo
	s_waitcnt lgkmcnt(2)
	v_cmp_gt_i32_e32 vcc_lo, v3, v6
	v_cndmask_b32_e64 v4, 0, 1, vcc_lo
	v_cmp_gt_i32_e32 vcc_lo, v3, v5
	v_add_co_ci_u32_e64 v1, null, v1, v2, vcc_lo
	s_waitcnt lgkmcnt(1)
	v_cmp_gt_i32_e32 vcc_lo, v3, v8
	v_cndmask_b32_e64 v2, 0, 1, vcc_lo
	v_cmp_gt_i32_e32 vcc_lo, v3, v7
	v_add_co_ci_u32_e64 v1, null, v1, v4, vcc_lo
	;; [unrolled: 5-line block ×3, first 2 shown]
	v_cmp_gt_i32_e32 vcc_lo, v3, v11
	v_add_co_ci_u32_e64 v1, null, v1, v4, vcc_lo
	s_cbranch_scc0 .LBB13_72
; %bb.73:                               ;   in Loop: Header=BB13_70 Depth=1
	s_inst_prefetch 0x2
	s_mov_b32 s0, s5
.LBB13_74:                              ;   in Loop: Header=BB13_70 Depth=1
	s_andn2_b32 vcc_lo, exec_lo, s6
	s_cbranch_vccnz .LBB13_69
; %bb.75:                               ;   in Loop: Header=BB13_70 Depth=1
	s_lshl_b32 s0, s0, 2
	s_mov_b32 s8, s1
	s_add_i32 s0, s0, 0
.LBB13_76:                              ;   Parent Loop BB13_70 Depth=1
                                        ; =>  This Inner Loop Header: Depth=2
	v_mov_b32_e32 v2, s0
	s_add_i32 s8, s8, -1
	s_add_i32 s0, s0, 4
	s_cmp_lg_u32 s8, 0
	ds_read_b32 v2, v2
	s_waitcnt lgkmcnt(0)
	v_cmp_gt_i32_e32 vcc_lo, v3, v2
	v_add_co_ci_u32_e64 v1, null, 0, v1, vcc_lo
	s_cbranch_scc1 .LBB13_76
	s_branch .LBB13_69
.LBB13_77:
	s_endpgm
	.section	.rodata,"a",@progbits
	.p2align	6, 0x0
	.amdhsa_kernel _ZN9rocsparseL35csrgemm_symbolic_fill_block_per_rowILj1024ELj32ELj2048ELj137ELj64EiiEEvT5_PKS1_S3_PKT4_S3_S6_S3_S6_S3_S6_PS1_21rocsparse_index_base_S8_S8_S8_bb
		.amdhsa_group_segment_fixed_size 0
		.amdhsa_private_segment_fixed_size 0
		.amdhsa_kernarg_size 108
		.amdhsa_user_sgpr_count 6
		.amdhsa_user_sgpr_private_segment_buffer 1
		.amdhsa_user_sgpr_dispatch_ptr 0
		.amdhsa_user_sgpr_queue_ptr 0
		.amdhsa_user_sgpr_kernarg_segment_ptr 1
		.amdhsa_user_sgpr_dispatch_id 0
		.amdhsa_user_sgpr_flat_scratch_init 0
		.amdhsa_user_sgpr_private_segment_size 0
		.amdhsa_wavefront_size32 1
		.amdhsa_uses_dynamic_stack 0
		.amdhsa_system_sgpr_private_segment_wavefront_offset 0
		.amdhsa_system_sgpr_workgroup_id_x 1
		.amdhsa_system_sgpr_workgroup_id_y 0
		.amdhsa_system_sgpr_workgroup_id_z 0
		.amdhsa_system_sgpr_workgroup_info 0
		.amdhsa_system_vgpr_workitem_id 0
		.amdhsa_next_free_vgpr 12
		.amdhsa_next_free_sgpr 31
		.amdhsa_reserve_vcc 1
		.amdhsa_reserve_flat_scratch 0
		.amdhsa_float_round_mode_32 0
		.amdhsa_float_round_mode_16_64 0
		.amdhsa_float_denorm_mode_32 3
		.amdhsa_float_denorm_mode_16_64 3
		.amdhsa_dx10_clamp 1
		.amdhsa_ieee_mode 1
		.amdhsa_fp16_overflow 0
		.amdhsa_workgroup_processor_mode 1
		.amdhsa_memory_ordered 1
		.amdhsa_forward_progress 1
		.amdhsa_shared_vgpr_count 0
		.amdhsa_exception_fp_ieee_invalid_op 0
		.amdhsa_exception_fp_denorm_src 0
		.amdhsa_exception_fp_ieee_div_zero 0
		.amdhsa_exception_fp_ieee_overflow 0
		.amdhsa_exception_fp_ieee_underflow 0
		.amdhsa_exception_fp_ieee_inexact 0
		.amdhsa_exception_int_div_zero 0
	.end_amdhsa_kernel
	.section	.text._ZN9rocsparseL35csrgemm_symbolic_fill_block_per_rowILj1024ELj32ELj2048ELj137ELj64EiiEEvT5_PKS1_S3_PKT4_S3_S6_S3_S6_S3_S6_PS1_21rocsparse_index_base_S8_S8_S8_bb,"axG",@progbits,_ZN9rocsparseL35csrgemm_symbolic_fill_block_per_rowILj1024ELj32ELj2048ELj137ELj64EiiEEvT5_PKS1_S3_PKT4_S3_S6_S3_S6_S3_S6_PS1_21rocsparse_index_base_S8_S8_S8_bb,comdat
.Lfunc_end13:
	.size	_ZN9rocsparseL35csrgemm_symbolic_fill_block_per_rowILj1024ELj32ELj2048ELj137ELj64EiiEEvT5_PKS1_S3_PKT4_S3_S6_S3_S6_S3_S6_PS1_21rocsparse_index_base_S8_S8_S8_bb, .Lfunc_end13-_ZN9rocsparseL35csrgemm_symbolic_fill_block_per_rowILj1024ELj32ELj2048ELj137ELj64EiiEEvT5_PKS1_S3_PKT4_S3_S6_S3_S6_S3_S6_PS1_21rocsparse_index_base_S8_S8_S8_bb
                                        ; -- End function
	.set _ZN9rocsparseL35csrgemm_symbolic_fill_block_per_rowILj1024ELj32ELj2048ELj137ELj64EiiEEvT5_PKS1_S3_PKT4_S3_S6_S3_S6_S3_S6_PS1_21rocsparse_index_base_S8_S8_S8_bb.num_vgpr, 12
	.set _ZN9rocsparseL35csrgemm_symbolic_fill_block_per_rowILj1024ELj32ELj2048ELj137ELj64EiiEEvT5_PKS1_S3_PKT4_S3_S6_S3_S6_S3_S6_PS1_21rocsparse_index_base_S8_S8_S8_bb.num_agpr, 0
	.set _ZN9rocsparseL35csrgemm_symbolic_fill_block_per_rowILj1024ELj32ELj2048ELj137ELj64EiiEEvT5_PKS1_S3_PKT4_S3_S6_S3_S6_S3_S6_PS1_21rocsparse_index_base_S8_S8_S8_bb.numbered_sgpr, 31
	.set _ZN9rocsparseL35csrgemm_symbolic_fill_block_per_rowILj1024ELj32ELj2048ELj137ELj64EiiEEvT5_PKS1_S3_PKT4_S3_S6_S3_S6_S3_S6_PS1_21rocsparse_index_base_S8_S8_S8_bb.num_named_barrier, 0
	.set _ZN9rocsparseL35csrgemm_symbolic_fill_block_per_rowILj1024ELj32ELj2048ELj137ELj64EiiEEvT5_PKS1_S3_PKT4_S3_S6_S3_S6_S3_S6_PS1_21rocsparse_index_base_S8_S8_S8_bb.private_seg_size, 0
	.set _ZN9rocsparseL35csrgemm_symbolic_fill_block_per_rowILj1024ELj32ELj2048ELj137ELj64EiiEEvT5_PKS1_S3_PKT4_S3_S6_S3_S6_S3_S6_PS1_21rocsparse_index_base_S8_S8_S8_bb.uses_vcc, 1
	.set _ZN9rocsparseL35csrgemm_symbolic_fill_block_per_rowILj1024ELj32ELj2048ELj137ELj64EiiEEvT5_PKS1_S3_PKT4_S3_S6_S3_S6_S3_S6_PS1_21rocsparse_index_base_S8_S8_S8_bb.uses_flat_scratch, 0
	.set _ZN9rocsparseL35csrgemm_symbolic_fill_block_per_rowILj1024ELj32ELj2048ELj137ELj64EiiEEvT5_PKS1_S3_PKT4_S3_S6_S3_S6_S3_S6_PS1_21rocsparse_index_base_S8_S8_S8_bb.has_dyn_sized_stack, 0
	.set _ZN9rocsparseL35csrgemm_symbolic_fill_block_per_rowILj1024ELj32ELj2048ELj137ELj64EiiEEvT5_PKS1_S3_PKT4_S3_S6_S3_S6_S3_S6_PS1_21rocsparse_index_base_S8_S8_S8_bb.has_recursion, 0
	.set _ZN9rocsparseL35csrgemm_symbolic_fill_block_per_rowILj1024ELj32ELj2048ELj137ELj64EiiEEvT5_PKS1_S3_PKT4_S3_S6_S3_S6_S3_S6_PS1_21rocsparse_index_base_S8_S8_S8_bb.has_indirect_call, 0
	.section	.AMDGPU.csdata,"",@progbits
; Kernel info:
; codeLenInByte = 2676
; TotalNumSgprs: 33
; NumVgprs: 12
; ScratchSize: 0
; MemoryBound: 0
; FloatMode: 240
; IeeeMode: 1
; LDSByteSize: 0 bytes/workgroup (compile time only)
; SGPRBlocks: 0
; VGPRBlocks: 1
; NumSGPRsForWavesPerEU: 33
; NumVGPRsForWavesPerEU: 12
; Occupancy: 16
; WaveLimiterHint : 1
; COMPUTE_PGM_RSRC2:SCRATCH_EN: 0
; COMPUTE_PGM_RSRC2:USER_SGPR: 6
; COMPUTE_PGM_RSRC2:TRAP_HANDLER: 0
; COMPUTE_PGM_RSRC2:TGID_X_EN: 1
; COMPUTE_PGM_RSRC2:TGID_Y_EN: 0
; COMPUTE_PGM_RSRC2:TGID_Z_EN: 0
; COMPUTE_PGM_RSRC2:TIDIG_COMP_CNT: 0
	.section	.text._ZN9rocsparseL35csrgemm_symbolic_fill_block_per_rowILj1024ELj64ELj4096ELj137ELj32EiiEEvT5_PKS1_S3_PKT4_S3_S6_S3_S6_S3_S6_PS1_21rocsparse_index_base_S8_S8_S8_bb,"axG",@progbits,_ZN9rocsparseL35csrgemm_symbolic_fill_block_per_rowILj1024ELj64ELj4096ELj137ELj32EiiEEvT5_PKS1_S3_PKT4_S3_S6_S3_S6_S3_S6_PS1_21rocsparse_index_base_S8_S8_S8_bb,comdat
	.globl	_ZN9rocsparseL35csrgemm_symbolic_fill_block_per_rowILj1024ELj64ELj4096ELj137ELj32EiiEEvT5_PKS1_S3_PKT4_S3_S6_S3_S6_S3_S6_PS1_21rocsparse_index_base_S8_S8_S8_bb ; -- Begin function _ZN9rocsparseL35csrgemm_symbolic_fill_block_per_rowILj1024ELj64ELj4096ELj137ELj32EiiEEvT5_PKS1_S3_PKT4_S3_S6_S3_S6_S3_S6_PS1_21rocsparse_index_base_S8_S8_S8_bb
	.p2align	8
	.type	_ZN9rocsparseL35csrgemm_symbolic_fill_block_per_rowILj1024ELj64ELj4096ELj137ELj32EiiEEvT5_PKS1_S3_PKT4_S3_S6_S3_S6_S3_S6_PS1_21rocsparse_index_base_S8_S8_S8_bb,@function
_ZN9rocsparseL35csrgemm_symbolic_fill_block_per_rowILj1024ELj64ELj4096ELj137ELj32EiiEEvT5_PKS1_S3_PKT4_S3_S6_S3_S6_S3_S6_PS1_21rocsparse_index_base_S8_S8_S8_bb: ; @_ZN9rocsparseL35csrgemm_symbolic_fill_block_per_rowILj1024ELj64ELj4096ELj137ELj32EiiEEvT5_PKS1_S3_PKT4_S3_S6_S3_S6_S3_S6_PS1_21rocsparse_index_base_S8_S8_S8_bb
; %bb.0:
	s_clause 0x3
	s_load_dword s33, s[4:5], 0x0
	s_load_dwordx4 s[36:39], s[4:5], 0x48
	s_load_dwordx8 s[8:15], s[4:5], 0x28
	s_load_dwordx8 s[16:23], s[4:5], 0x8
	v_lshl_add_u32 v4, v0, 2, 0
	v_or_b32_e32 v5, 0xfffffc00, v0
	s_mov_b32 s0, 0
	v_mov_b32_e32 v1, v4
	v_mov_b32_e32 v3, v5
	s_waitcnt lgkmcnt(0)
	v_mov_b32_e32 v2, s33
.LBB14_1:                               ; =>This Inner Loop Header: Depth=1
	v_add_nc_u32_e32 v3, 0x400, v3
	ds_write_b32 v1, v2
	v_add_nc_u32_e32 v1, 0x1000, v1
	v_cmp_lt_u32_e32 vcc_lo, 0xbff, v3
	s_or_b32 s0, vcc_lo, s0
	s_andn2_b32 exec_lo, exec_lo, s0
	s_cbranch_execnz .LBB14_1
; %bb.2:
	s_or_b32 exec_lo, exec_lo, s0
	s_load_dword s0, s[4:5], 0x68
	s_waitcnt lgkmcnt(0)
	s_barrier
	buffer_gl0_inv
	s_load_dword s1, s[16:17], 0x0
	s_mov_b32 s3, 0
	s_bitcmp1_b32 s0, 0
	s_cselect_b32 s7, -1, 0
	s_waitcnt lgkmcnt(0)
	s_add_i32 s2, s1, s6
	s_lshl_b64 s[2:3], s[2:3], 2
	s_add_u32 s2, s18, s2
	s_addc_u32 s3, s19, s3
	s_load_dwordx4 s[40:43], s[4:5], 0x58
	s_load_dword s34, s[2:3], 0x0
	s_and_b32 vcc_lo, exec_lo, s7
	s_cbranch_vccz .LBB14_18
; %bb.3:
	s_waitcnt lgkmcnt(0)
	s_ashr_i32 s35, s34, 31
	v_lshrrev_b32_e32 v1, 6, v0
	s_lshl_b64 s[2:3], s[34:35], 2
	s_add_u32 s2, s20, s2
	s_addc_u32 s3, s21, s3
	v_subrev_nc_u32_e32 v1, s40, v1
	s_load_dwordx2 s[2:3], s[2:3], 0x0
	s_waitcnt lgkmcnt(0)
	v_add_nc_u32_e32 v1, s2, v1
	s_sub_i32 s1, s3, s40
	s_mov_b32 s2, exec_lo
	v_cmpx_gt_i32_e64 s1, v1
	s_cbranch_execz .LBB14_17
; %bb.4:
	v_and_b32_e32 v2, 63, v0
	s_mov_b32 s3, 0
	v_subrev_nc_u32_e32 v6, s41, v2
	s_branch .LBB14_6
.LBB14_5:                               ;   in Loop: Header=BB14_6 Depth=1
	s_or_b32 exec_lo, exec_lo, s4
	v_add_nc_u32_e32 v1, 16, v1
	v_cmp_le_i32_e32 vcc_lo, s1, v1
	s_or_b32 s3, vcc_lo, s3
	s_andn2_b32 exec_lo, exec_lo, s3
	s_cbranch_execz .LBB14_17
.LBB14_6:                               ; =>This Loop Header: Depth=1
                                        ;     Child Loop BB14_9 Depth 2
                                        ;       Child Loop BB14_12 Depth 3
	v_ashrrev_i32_e32 v2, 31, v1
	s_mov_b32 s4, exec_lo
	v_lshlrev_b64 v[2:3], 2, v[1:2]
	v_add_co_u32 v2, vcc_lo, s22, v2
	v_add_co_ci_u32_e64 v3, null, s23, v3, vcc_lo
	global_load_dword v2, v[2:3], off
	s_waitcnt vmcnt(0)
	v_subrev_nc_u32_e32 v2, s40, v2
	v_ashrrev_i32_e32 v3, 31, v2
	v_lshlrev_b64 v[2:3], 2, v[2:3]
	v_add_co_u32 v2, vcc_lo, s8, v2
	v_add_co_ci_u32_e64 v3, null, s9, v3, vcc_lo
	global_load_dwordx2 v[2:3], v[2:3], off
	s_waitcnt vmcnt(0)
	v_subrev_nc_u32_e32 v7, s41, v3
	v_add_nc_u32_e32 v2, v2, v6
	v_cmpx_lt_i32_e64 v2, v7
	s_cbranch_execz .LBB14_5
; %bb.7:                                ;   in Loop: Header=BB14_6 Depth=1
	s_mov_b32 s5, 0
	s_branch .LBB14_9
.LBB14_8:                               ;   in Loop: Header=BB14_9 Depth=2
	s_inst_prefetch 0x2
	s_or_b32 exec_lo, exec_lo, s6
	v_add_nc_u32_e32 v2, 64, v2
	v_cmp_ge_i32_e32 vcc_lo, v2, v7
	s_or_b32 s5, vcc_lo, s5
	s_andn2_b32 exec_lo, exec_lo, s5
	s_cbranch_execz .LBB14_5
.LBB14_9:                               ;   Parent Loop BB14_6 Depth=1
                                        ; =>  This Loop Header: Depth=2
                                        ;       Child Loop BB14_12 Depth 3
	v_ashrrev_i32_e32 v3, 31, v2
	s_mov_b32 s6, 0
                                        ; implicit-def: $sgpr7
	v_lshlrev_b64 v[8:9], 2, v[2:3]
	v_add_co_u32 v8, vcc_lo, s10, v8
	v_add_co_ci_u32_e64 v9, null, s11, v9, vcc_lo
	global_load_dword v3, v[8:9], off
	s_waitcnt vmcnt(0)
	v_subrev_nc_u32_e32 v3, s41, v3
	v_mul_lo_u32 v8, 0x89, v3
	v_and_b32_e32 v8, 0xfff, v8
	s_inst_prefetch 0x1
	s_branch .LBB14_12
	.p2align	6
.LBB14_10:                              ;   in Loop: Header=BB14_12 Depth=3
	s_or_b32 exec_lo, exec_lo, s17
	s_andn2_b32 s7, s7, exec_lo
	s_and_b32 s17, s18, exec_lo
	s_or_b32 s7, s7, s17
.LBB14_11:                              ;   in Loop: Header=BB14_12 Depth=3
	s_or_b32 exec_lo, exec_lo, s16
	s_xor_b32 s16, s7, -1
	s_and_b32 s16, exec_lo, s16
	s_or_b32 s6, s16, s6
	s_andn2_b32 exec_lo, exec_lo, s6
	s_cbranch_execz .LBB14_8
.LBB14_12:                              ;   Parent Loop BB14_6 Depth=1
                                        ;     Parent Loop BB14_9 Depth=2
                                        ; =>    This Inner Loop Header: Depth=3
	v_lshl_add_u32 v9, v8, 2, 0
	s_andn2_b32 s7, s7, exec_lo
	s_mov_b32 s16, exec_lo
	ds_read_b32 v10, v9
	s_waitcnt lgkmcnt(0)
	v_cmpx_ne_u32_e64 v10, v3
	s_cbranch_execz .LBB14_11
; %bb.13:                               ;   in Loop: Header=BB14_12 Depth=3
	s_mov_b32 s17, exec_lo
	v_cmpx_ne_u32_e64 s33, v10
	s_xor_b32 s17, exec_lo, s17
; %bb.14:                               ;   in Loop: Header=BB14_12 Depth=3
	v_add_nc_u32_e32 v8, 1, v8
                                        ; implicit-def: $vgpr9
	v_and_b32_e32 v8, 0xfff, v8
; %bb.15:                               ;   in Loop: Header=BB14_12 Depth=3
	s_or_saveexec_b32 s17, s17
	s_mov_b32 s18, -1
	s_xor_b32 exec_lo, exec_lo, s17
	s_cbranch_execz .LBB14_10
; %bb.16:                               ;   in Loop: Header=BB14_12 Depth=3
	v_mov_b32_e32 v10, s33
	ds_cmpst_rtn_b32 v9, v9, v10, v3
	s_waitcnt lgkmcnt(0)
	v_cmp_ne_u32_e32 vcc_lo, s33, v9
	s_orn2_b32 s18, vcc_lo, exec_lo
	s_branch .LBB14_10
.LBB14_17:
	s_or_b32 exec_lo, exec_lo, s2
.LBB14_18:
	s_bfe_u32 s0, s0, 0x10008
	s_cmp_eq_u32 s0, 0
	s_cbranch_scc1 .LBB14_31
; %bb.19:
	s_waitcnt lgkmcnt(0)
	s_ashr_i32 s35, s34, 31
	v_subrev_nc_u32_e32 v1, s43, v0
	s_lshl_b64 s[0:1], s[34:35], 2
	s_add_u32 s0, s12, s0
	s_addc_u32 s1, s13, s1
	s_load_dwordx2 s[0:1], s[0:1], 0x0
	s_waitcnt lgkmcnt(0)
	v_add_nc_u32_e32 v1, s0, v1
	s_sub_i32 s0, s1, s43
	s_mov_b32 s1, exec_lo
	v_cmpx_gt_i32_e64 s0, v1
	s_cbranch_execz .LBB14_30
; %bb.20:
	s_mov_b32 s2, 0
	s_branch .LBB14_22
.LBB14_21:                              ;   in Loop: Header=BB14_22 Depth=1
	s_inst_prefetch 0x2
	s_or_b32 exec_lo, exec_lo, s3
	v_add_nc_u32_e32 v1, 0x400, v1
	v_cmp_le_i32_e32 vcc_lo, s0, v1
	s_or_b32 s2, vcc_lo, s2
	s_andn2_b32 exec_lo, exec_lo, s2
	s_cbranch_execz .LBB14_30
.LBB14_22:                              ; =>This Loop Header: Depth=1
                                        ;     Child Loop BB14_25 Depth 2
	v_ashrrev_i32_e32 v2, 31, v1
	s_mov_b32 s3, 0
                                        ; implicit-def: $sgpr4
	v_lshlrev_b64 v[2:3], 2, v[1:2]
	v_add_co_u32 v2, vcc_lo, s14, v2
	v_add_co_ci_u32_e64 v3, null, s15, v3, vcc_lo
	global_load_dword v2, v[2:3], off
	s_waitcnt vmcnt(0)
	v_subrev_nc_u32_e32 v2, s43, v2
	v_mul_lo_u32 v3, 0x89, v2
	v_and_b32_e32 v3, 0xfff, v3
	s_inst_prefetch 0x1
	s_branch .LBB14_25
	.p2align	6
.LBB14_23:                              ;   in Loop: Header=BB14_25 Depth=2
	s_or_b32 exec_lo, exec_lo, s6
	s_andn2_b32 s4, s4, exec_lo
	s_and_b32 s6, s7, exec_lo
	s_or_b32 s4, s4, s6
.LBB14_24:                              ;   in Loop: Header=BB14_25 Depth=2
	s_or_b32 exec_lo, exec_lo, s5
	s_xor_b32 s5, s4, -1
	s_and_b32 s5, exec_lo, s5
	s_or_b32 s3, s5, s3
	s_andn2_b32 exec_lo, exec_lo, s3
	s_cbranch_execz .LBB14_21
.LBB14_25:                              ;   Parent Loop BB14_22 Depth=1
                                        ; =>  This Inner Loop Header: Depth=2
	v_lshl_add_u32 v6, v3, 2, 0
	s_andn2_b32 s4, s4, exec_lo
	s_mov_b32 s5, exec_lo
	ds_read_b32 v7, v6
	s_waitcnt lgkmcnt(0)
	v_cmpx_ne_u32_e64 v7, v2
	s_cbranch_execz .LBB14_24
; %bb.26:                               ;   in Loop: Header=BB14_25 Depth=2
	s_mov_b32 s6, exec_lo
	v_cmpx_ne_u32_e64 s33, v7
	s_xor_b32 s6, exec_lo, s6
; %bb.27:                               ;   in Loop: Header=BB14_25 Depth=2
	v_add_nc_u32_e32 v3, 1, v3
                                        ; implicit-def: $vgpr6
	v_and_b32_e32 v3, 0xfff, v3
; %bb.28:                               ;   in Loop: Header=BB14_25 Depth=2
	s_or_saveexec_b32 s6, s6
	s_mov_b32 s7, -1
	s_xor_b32 exec_lo, exec_lo, s6
	s_cbranch_execz .LBB14_23
; %bb.29:                               ;   in Loop: Header=BB14_25 Depth=2
	v_mov_b32_e32 v7, s33
	ds_cmpst_rtn_b32 v6, v6, v7, v2
	s_waitcnt lgkmcnt(0)
	v_cmp_ne_u32_e32 vcc_lo, s33, v6
	s_orn2_b32 s7, vcc_lo, exec_lo
	s_branch .LBB14_23
.LBB14_30:
	s_or_b32 exec_lo, exec_lo, s1
.LBB14_31:
	v_mbcnt_lo_u32_b32 v2, -1, 0
	v_lshrrev_b32_e32 v3, 3, v0
	v_mov_b32_e32 v1, 0
	v_cmp_lt_u32_e64 s0, 31, v0
	v_cmp_lt_u32_e64 s1, 63, v0
	v_xor_b32_e32 v2, 31, v2
	v_and_b32_e32 v3, 0x7c, v3
	v_cmp_lt_u32_e64 s2, 0x5f, v0
	v_cmp_lt_u32_e64 s3, 0x7f, v0
	;; [unrolled: 1-line block ×3, first 2 shown]
	v_lshrrev_b32_e64 v2, v2, -1
	v_add_nc_u32_e32 v3, 0, v3
	v_cmp_lt_u32_e64 s5, 0xbf, v0
	v_cmp_lt_u32_e64 s6, 0xdf, v0
	;; [unrolled: 1-line block ×26, first 2 shown]
	v_mov_b32_e32 v6, 0
	s_mov_b32 s35, 0
	v_cmp_eq_u32_e32 vcc_lo, 0x3ff, v0
	s_waitcnt lgkmcnt(0)
	s_barrier
	buffer_gl0_inv
	s_branch .LBB14_33
.LBB14_32:                              ;   in Loop: Header=BB14_33 Depth=1
	s_or_b32 exec_lo, exec_lo, s31
	s_waitcnt lgkmcnt(0)
	s_barrier
	buffer_gl0_inv
	ds_read_b32 v7, v1 offset:16508
	v_add_nc_u32_e32 v5, 0x400, v5
	v_add_nc_u32_e32 v4, 0x1000, v4
	v_cmp_lt_u32_e64 s31, 0xbff, v5
	s_or_b32 s35, s31, s35
	s_waitcnt lgkmcnt(0)
	v_add_nc_u32_e32 v6, v7, v6
	s_andn2_b32 exec_lo, exec_lo, s35
	s_cbranch_execz .LBB14_99
.LBB14_33:                              ; =>This Inner Loop Header: Depth=1
	ds_read_b32 v7, v4
	s_waitcnt lgkmcnt(0)
	s_barrier
	buffer_gl0_inv
	v_cmp_gt_i32_e64 s31, s33, v7
	v_and_b32_e32 v8, s31, v2
	s_bcnt1_i32_b32 s40, s31
	v_mov_b32_e32 v9, s40
	v_bcnt_u32_b32 v8, v8, 0
	ds_write_b32 v3, v9 offset:16384
	s_waitcnt lgkmcnt(0)
	s_barrier
	buffer_gl0_inv
	s_and_saveexec_b32 s40, s0
	s_cbranch_execnz .LBB14_66
; %bb.34:                               ;   in Loop: Header=BB14_33 Depth=1
	s_or_b32 exec_lo, exec_lo, s40
	s_and_saveexec_b32 s40, s1
	s_cbranch_execnz .LBB14_67
.LBB14_35:                              ;   in Loop: Header=BB14_33 Depth=1
	s_or_b32 exec_lo, exec_lo, s40
	s_and_saveexec_b32 s40, s2
	s_cbranch_execnz .LBB14_68
.LBB14_36:                              ;   in Loop: Header=BB14_33 Depth=1
	s_or_b32 exec_lo, exec_lo, s40
	s_and_saveexec_b32 s40, s3
	s_cbranch_execnz .LBB14_69
.LBB14_37:                              ;   in Loop: Header=BB14_33 Depth=1
	s_or_b32 exec_lo, exec_lo, s40
	s_and_saveexec_b32 s40, s4
	s_cbranch_execnz .LBB14_70
.LBB14_38:                              ;   in Loop: Header=BB14_33 Depth=1
	s_or_b32 exec_lo, exec_lo, s40
	s_and_saveexec_b32 s40, s5
	s_cbranch_execnz .LBB14_71
.LBB14_39:                              ;   in Loop: Header=BB14_33 Depth=1
	s_or_b32 exec_lo, exec_lo, s40
	s_and_saveexec_b32 s40, s6
	s_cbranch_execnz .LBB14_72
.LBB14_40:                              ;   in Loop: Header=BB14_33 Depth=1
	s_or_b32 exec_lo, exec_lo, s40
	s_and_saveexec_b32 s40, s7
	s_cbranch_execnz .LBB14_73
.LBB14_41:                              ;   in Loop: Header=BB14_33 Depth=1
	s_or_b32 exec_lo, exec_lo, s40
	s_and_saveexec_b32 s40, s8
	s_cbranch_execnz .LBB14_74
.LBB14_42:                              ;   in Loop: Header=BB14_33 Depth=1
	s_or_b32 exec_lo, exec_lo, s40
	s_and_saveexec_b32 s40, s9
	s_cbranch_execnz .LBB14_75
.LBB14_43:                              ;   in Loop: Header=BB14_33 Depth=1
	s_or_b32 exec_lo, exec_lo, s40
	s_and_saveexec_b32 s40, s10
	s_cbranch_execnz .LBB14_76
.LBB14_44:                              ;   in Loop: Header=BB14_33 Depth=1
	s_or_b32 exec_lo, exec_lo, s40
	s_and_saveexec_b32 s40, s11
	s_cbranch_execnz .LBB14_77
.LBB14_45:                              ;   in Loop: Header=BB14_33 Depth=1
	s_or_b32 exec_lo, exec_lo, s40
	s_and_saveexec_b32 s40, s12
	s_cbranch_execnz .LBB14_78
.LBB14_46:                              ;   in Loop: Header=BB14_33 Depth=1
	s_or_b32 exec_lo, exec_lo, s40
	s_and_saveexec_b32 s40, s13
	s_cbranch_execnz .LBB14_79
.LBB14_47:                              ;   in Loop: Header=BB14_33 Depth=1
	s_or_b32 exec_lo, exec_lo, s40
	s_and_saveexec_b32 s40, s14
	s_cbranch_execnz .LBB14_80
.LBB14_48:                              ;   in Loop: Header=BB14_33 Depth=1
	s_or_b32 exec_lo, exec_lo, s40
	s_and_saveexec_b32 s40, s15
	s_cbranch_execnz .LBB14_81
.LBB14_49:                              ;   in Loop: Header=BB14_33 Depth=1
	s_or_b32 exec_lo, exec_lo, s40
	s_and_saveexec_b32 s40, s16
	s_cbranch_execnz .LBB14_82
.LBB14_50:                              ;   in Loop: Header=BB14_33 Depth=1
	s_or_b32 exec_lo, exec_lo, s40
	s_and_saveexec_b32 s40, s17
	s_cbranch_execnz .LBB14_83
.LBB14_51:                              ;   in Loop: Header=BB14_33 Depth=1
	s_or_b32 exec_lo, exec_lo, s40
	s_and_saveexec_b32 s40, s18
	s_cbranch_execnz .LBB14_84
.LBB14_52:                              ;   in Loop: Header=BB14_33 Depth=1
	s_or_b32 exec_lo, exec_lo, s40
	s_and_saveexec_b32 s40, s19
	s_cbranch_execnz .LBB14_85
.LBB14_53:                              ;   in Loop: Header=BB14_33 Depth=1
	s_or_b32 exec_lo, exec_lo, s40
	s_and_saveexec_b32 s40, s20
	s_cbranch_execnz .LBB14_86
.LBB14_54:                              ;   in Loop: Header=BB14_33 Depth=1
	s_or_b32 exec_lo, exec_lo, s40
	s_and_saveexec_b32 s40, s21
	s_cbranch_execnz .LBB14_87
.LBB14_55:                              ;   in Loop: Header=BB14_33 Depth=1
	s_or_b32 exec_lo, exec_lo, s40
	s_and_saveexec_b32 s40, s22
	s_cbranch_execnz .LBB14_88
.LBB14_56:                              ;   in Loop: Header=BB14_33 Depth=1
	s_or_b32 exec_lo, exec_lo, s40
	s_and_saveexec_b32 s40, s23
	s_cbranch_execnz .LBB14_89
.LBB14_57:                              ;   in Loop: Header=BB14_33 Depth=1
	s_or_b32 exec_lo, exec_lo, s40
	s_and_saveexec_b32 s40, s24
	s_cbranch_execnz .LBB14_90
.LBB14_58:                              ;   in Loop: Header=BB14_33 Depth=1
	s_or_b32 exec_lo, exec_lo, s40
	s_and_saveexec_b32 s40, s25
	s_cbranch_execnz .LBB14_91
.LBB14_59:                              ;   in Loop: Header=BB14_33 Depth=1
	s_or_b32 exec_lo, exec_lo, s40
	s_and_saveexec_b32 s40, s26
	s_cbranch_execnz .LBB14_92
.LBB14_60:                              ;   in Loop: Header=BB14_33 Depth=1
	s_or_b32 exec_lo, exec_lo, s40
	s_and_saveexec_b32 s40, s27
	s_cbranch_execnz .LBB14_93
.LBB14_61:                              ;   in Loop: Header=BB14_33 Depth=1
	s_or_b32 exec_lo, exec_lo, s40
	s_and_saveexec_b32 s40, s28
	s_cbranch_execnz .LBB14_94
.LBB14_62:                              ;   in Loop: Header=BB14_33 Depth=1
	s_or_b32 exec_lo, exec_lo, s40
	s_and_saveexec_b32 s40, s29
	s_cbranch_execnz .LBB14_95
.LBB14_63:                              ;   in Loop: Header=BB14_33 Depth=1
	s_or_b32 exec_lo, exec_lo, s40
	s_and_saveexec_b32 s40, s30
	s_cbranch_execnz .LBB14_96
.LBB14_64:                              ;   in Loop: Header=BB14_33 Depth=1
	s_or_b32 exec_lo, exec_lo, s40
	s_and_saveexec_b32 s40, s31
	s_cbranch_execnz .LBB14_97
.LBB14_65:                              ;   in Loop: Header=BB14_33 Depth=1
	s_or_b32 exec_lo, exec_lo, s40
	s_and_saveexec_b32 s31, vcc_lo
	s_cbranch_execz .LBB14_32
	s_branch .LBB14_98
.LBB14_66:                              ;   in Loop: Header=BB14_33 Depth=1
	ds_read_b32 v9, v1 offset:16384
	s_waitcnt lgkmcnt(0)
	v_add_nc_u32_e32 v8, v9, v8
	s_or_b32 exec_lo, exec_lo, s40
	s_and_saveexec_b32 s40, s1
	s_cbranch_execz .LBB14_35
.LBB14_67:                              ;   in Loop: Header=BB14_33 Depth=1
	ds_read_b32 v9, v1 offset:16388
	s_waitcnt lgkmcnt(0)
	v_add_nc_u32_e32 v8, v9, v8
	s_or_b32 exec_lo, exec_lo, s40
	s_and_saveexec_b32 s40, s2
	s_cbranch_execz .LBB14_36
.LBB14_68:                              ;   in Loop: Header=BB14_33 Depth=1
	ds_read_b32 v9, v1 offset:16392
	s_waitcnt lgkmcnt(0)
	v_add_nc_u32_e32 v8, v9, v8
	s_or_b32 exec_lo, exec_lo, s40
	s_and_saveexec_b32 s40, s3
	s_cbranch_execz .LBB14_37
.LBB14_69:                              ;   in Loop: Header=BB14_33 Depth=1
	ds_read_b32 v9, v1 offset:16396
	s_waitcnt lgkmcnt(0)
	v_add_nc_u32_e32 v8, v9, v8
	s_or_b32 exec_lo, exec_lo, s40
	s_and_saveexec_b32 s40, s4
	s_cbranch_execz .LBB14_38
.LBB14_70:                              ;   in Loop: Header=BB14_33 Depth=1
	ds_read_b32 v9, v1 offset:16400
	s_waitcnt lgkmcnt(0)
	v_add_nc_u32_e32 v8, v9, v8
	s_or_b32 exec_lo, exec_lo, s40
	s_and_saveexec_b32 s40, s5
	s_cbranch_execz .LBB14_39
.LBB14_71:                              ;   in Loop: Header=BB14_33 Depth=1
	ds_read_b32 v9, v1 offset:16404
	s_waitcnt lgkmcnt(0)
	v_add_nc_u32_e32 v8, v9, v8
	s_or_b32 exec_lo, exec_lo, s40
	s_and_saveexec_b32 s40, s6
	s_cbranch_execz .LBB14_40
.LBB14_72:                              ;   in Loop: Header=BB14_33 Depth=1
	ds_read_b32 v9, v1 offset:16408
	s_waitcnt lgkmcnt(0)
	v_add_nc_u32_e32 v8, v9, v8
	s_or_b32 exec_lo, exec_lo, s40
	s_and_saveexec_b32 s40, s7
	s_cbranch_execz .LBB14_41
.LBB14_73:                              ;   in Loop: Header=BB14_33 Depth=1
	ds_read_b32 v9, v1 offset:16412
	s_waitcnt lgkmcnt(0)
	v_add_nc_u32_e32 v8, v9, v8
	s_or_b32 exec_lo, exec_lo, s40
	s_and_saveexec_b32 s40, s8
	s_cbranch_execz .LBB14_42
.LBB14_74:                              ;   in Loop: Header=BB14_33 Depth=1
	ds_read_b32 v9, v1 offset:16416
	s_waitcnt lgkmcnt(0)
	v_add_nc_u32_e32 v8, v9, v8
	s_or_b32 exec_lo, exec_lo, s40
	s_and_saveexec_b32 s40, s9
	s_cbranch_execz .LBB14_43
.LBB14_75:                              ;   in Loop: Header=BB14_33 Depth=1
	ds_read_b32 v9, v1 offset:16420
	s_waitcnt lgkmcnt(0)
	v_add_nc_u32_e32 v8, v9, v8
	s_or_b32 exec_lo, exec_lo, s40
	s_and_saveexec_b32 s40, s10
	s_cbranch_execz .LBB14_44
.LBB14_76:                              ;   in Loop: Header=BB14_33 Depth=1
	ds_read_b32 v9, v1 offset:16424
	s_waitcnt lgkmcnt(0)
	v_add_nc_u32_e32 v8, v9, v8
	s_or_b32 exec_lo, exec_lo, s40
	s_and_saveexec_b32 s40, s11
	s_cbranch_execz .LBB14_45
.LBB14_77:                              ;   in Loop: Header=BB14_33 Depth=1
	ds_read_b32 v9, v1 offset:16428
	s_waitcnt lgkmcnt(0)
	v_add_nc_u32_e32 v8, v9, v8
	s_or_b32 exec_lo, exec_lo, s40
	s_and_saveexec_b32 s40, s12
	s_cbranch_execz .LBB14_46
.LBB14_78:                              ;   in Loop: Header=BB14_33 Depth=1
	ds_read_b32 v9, v1 offset:16432
	s_waitcnt lgkmcnt(0)
	v_add_nc_u32_e32 v8, v9, v8
	s_or_b32 exec_lo, exec_lo, s40
	s_and_saveexec_b32 s40, s13
	s_cbranch_execz .LBB14_47
.LBB14_79:                              ;   in Loop: Header=BB14_33 Depth=1
	ds_read_b32 v9, v1 offset:16436
	s_waitcnt lgkmcnt(0)
	v_add_nc_u32_e32 v8, v9, v8
	s_or_b32 exec_lo, exec_lo, s40
	s_and_saveexec_b32 s40, s14
	s_cbranch_execz .LBB14_48
.LBB14_80:                              ;   in Loop: Header=BB14_33 Depth=1
	ds_read_b32 v9, v1 offset:16440
	s_waitcnt lgkmcnt(0)
	v_add_nc_u32_e32 v8, v9, v8
	s_or_b32 exec_lo, exec_lo, s40
	s_and_saveexec_b32 s40, s15
	s_cbranch_execz .LBB14_49
.LBB14_81:                              ;   in Loop: Header=BB14_33 Depth=1
	ds_read_b32 v9, v1 offset:16444
	s_waitcnt lgkmcnt(0)
	v_add_nc_u32_e32 v8, v9, v8
	s_or_b32 exec_lo, exec_lo, s40
	s_and_saveexec_b32 s40, s16
	s_cbranch_execz .LBB14_50
.LBB14_82:                              ;   in Loop: Header=BB14_33 Depth=1
	ds_read_b32 v9, v1 offset:16448
	s_waitcnt lgkmcnt(0)
	v_add_nc_u32_e32 v8, v9, v8
	s_or_b32 exec_lo, exec_lo, s40
	s_and_saveexec_b32 s40, s17
	s_cbranch_execz .LBB14_51
.LBB14_83:                              ;   in Loop: Header=BB14_33 Depth=1
	ds_read_b32 v9, v1 offset:16452
	s_waitcnt lgkmcnt(0)
	v_add_nc_u32_e32 v8, v9, v8
	s_or_b32 exec_lo, exec_lo, s40
	s_and_saveexec_b32 s40, s18
	s_cbranch_execz .LBB14_52
.LBB14_84:                              ;   in Loop: Header=BB14_33 Depth=1
	ds_read_b32 v9, v1 offset:16456
	s_waitcnt lgkmcnt(0)
	v_add_nc_u32_e32 v8, v9, v8
	s_or_b32 exec_lo, exec_lo, s40
	s_and_saveexec_b32 s40, s19
	s_cbranch_execz .LBB14_53
.LBB14_85:                              ;   in Loop: Header=BB14_33 Depth=1
	ds_read_b32 v9, v1 offset:16460
	s_waitcnt lgkmcnt(0)
	v_add_nc_u32_e32 v8, v9, v8
	s_or_b32 exec_lo, exec_lo, s40
	s_and_saveexec_b32 s40, s20
	s_cbranch_execz .LBB14_54
.LBB14_86:                              ;   in Loop: Header=BB14_33 Depth=1
	ds_read_b32 v9, v1 offset:16464
	s_waitcnt lgkmcnt(0)
	v_add_nc_u32_e32 v8, v9, v8
	s_or_b32 exec_lo, exec_lo, s40
	s_and_saveexec_b32 s40, s21
	s_cbranch_execz .LBB14_55
.LBB14_87:                              ;   in Loop: Header=BB14_33 Depth=1
	ds_read_b32 v9, v1 offset:16468
	s_waitcnt lgkmcnt(0)
	v_add_nc_u32_e32 v8, v9, v8
	s_or_b32 exec_lo, exec_lo, s40
	s_and_saveexec_b32 s40, s22
	s_cbranch_execz .LBB14_56
.LBB14_88:                              ;   in Loop: Header=BB14_33 Depth=1
	ds_read_b32 v9, v1 offset:16472
	s_waitcnt lgkmcnt(0)
	v_add_nc_u32_e32 v8, v9, v8
	s_or_b32 exec_lo, exec_lo, s40
	s_and_saveexec_b32 s40, s23
	s_cbranch_execz .LBB14_57
.LBB14_89:                              ;   in Loop: Header=BB14_33 Depth=1
	ds_read_b32 v9, v1 offset:16476
	s_waitcnt lgkmcnt(0)
	v_add_nc_u32_e32 v8, v9, v8
	s_or_b32 exec_lo, exec_lo, s40
	s_and_saveexec_b32 s40, s24
	s_cbranch_execz .LBB14_58
.LBB14_90:                              ;   in Loop: Header=BB14_33 Depth=1
	ds_read_b32 v9, v1 offset:16480
	s_waitcnt lgkmcnt(0)
	v_add_nc_u32_e32 v8, v9, v8
	s_or_b32 exec_lo, exec_lo, s40
	s_and_saveexec_b32 s40, s25
	s_cbranch_execz .LBB14_59
.LBB14_91:                              ;   in Loop: Header=BB14_33 Depth=1
	ds_read_b32 v9, v1 offset:16484
	s_waitcnt lgkmcnt(0)
	v_add_nc_u32_e32 v8, v9, v8
	s_or_b32 exec_lo, exec_lo, s40
	s_and_saveexec_b32 s40, s26
	s_cbranch_execz .LBB14_60
.LBB14_92:                              ;   in Loop: Header=BB14_33 Depth=1
	ds_read_b32 v9, v1 offset:16488
	s_waitcnt lgkmcnt(0)
	v_add_nc_u32_e32 v8, v9, v8
	s_or_b32 exec_lo, exec_lo, s40
	s_and_saveexec_b32 s40, s27
	s_cbranch_execz .LBB14_61
.LBB14_93:                              ;   in Loop: Header=BB14_33 Depth=1
	ds_read_b32 v9, v1 offset:16492
	s_waitcnt lgkmcnt(0)
	v_add_nc_u32_e32 v8, v9, v8
	s_or_b32 exec_lo, exec_lo, s40
	s_and_saveexec_b32 s40, s28
	s_cbranch_execz .LBB14_62
.LBB14_94:                              ;   in Loop: Header=BB14_33 Depth=1
	ds_read_b32 v9, v1 offset:16496
	s_waitcnt lgkmcnt(0)
	v_add_nc_u32_e32 v8, v9, v8
	s_or_b32 exec_lo, exec_lo, s40
	s_and_saveexec_b32 s40, s29
	s_cbranch_execz .LBB14_63
.LBB14_95:                              ;   in Loop: Header=BB14_33 Depth=1
	ds_read_b32 v9, v1 offset:16500
	s_waitcnt lgkmcnt(0)
	v_add_nc_u32_e32 v8, v9, v8
	s_or_b32 exec_lo, exec_lo, s40
	s_and_saveexec_b32 s40, s30
	s_cbranch_execz .LBB14_64
.LBB14_96:                              ;   in Loop: Header=BB14_33 Depth=1
	ds_read_b32 v9, v1 offset:16504
	s_waitcnt lgkmcnt(0)
	v_add_nc_u32_e32 v8, v9, v8
	s_or_b32 exec_lo, exec_lo, s40
	s_and_saveexec_b32 s40, s31
	s_cbranch_execz .LBB14_65
.LBB14_97:                              ;   in Loop: Header=BB14_33 Depth=1
	v_lshlrev_b32_e32 v9, 2, v6
	v_lshlrev_b32_e32 v10, 2, v8
	v_add_nc_u32_e32 v9, 0, v9
	v_add3_u32 v9, v9, v10, -4
	ds_write_b32 v9, v7
	s_or_b32 exec_lo, exec_lo, s40
	s_and_saveexec_b32 s31, vcc_lo
	s_cbranch_execz .LBB14_32
.LBB14_98:                              ;   in Loop: Header=BB14_33 Depth=1
	ds_write_b32 v1, v8 offset:16508
	s_branch .LBB14_32
.LBB14_99:
	s_or_b32 exec_lo, exec_lo, s35
	s_ashr_i32 s35, s34, 31
	s_mov_b32 s3, exec_lo
	s_lshl_b64 s[0:1], s[34:35], 2
	s_add_u32 s0, s36, s0
	s_addc_u32 s1, s37, s1
	s_load_dwordx2 s[0:1], s[0:1], 0x0
	s_waitcnt lgkmcnt(0)
	s_sub_i32 s2, s1, s0
	v_cmpx_gt_i32_e64 s2, v0
	s_cbranch_execz .LBB14_109
; %bb.100:
	s_sub_i32 s3, s0, s42
	s_sub_i32 s0, s0, s1
	s_and_b32 s1, s2, 7
	s_cmp_lt_u32 s0, -7
	s_mov_b32 s7, 0
	s_cselect_b32 s4, -1, 0
	s_and_b32 s5, s2, -8
	s_cmp_lg_u32 s1, 0
	s_cselect_b32 s6, -1, 0
	s_branch .LBB14_102
.LBB14_101:                             ;   in Loop: Header=BB14_102 Depth=1
	v_ashrrev_i32_e32 v2, 31, v1
	v_add_nc_u32_e32 v0, 0x400, v0
	s_waitcnt lgkmcnt(0)
	v_add_nc_u32_e32 v3, s42, v3
	v_lshlrev_b64 v[1:2], 2, v[1:2]
	v_cmp_le_i32_e32 vcc_lo, s2, v0
	s_or_b32 s7, vcc_lo, s7
	v_add_co_u32 v1, s0, s38, v1
	v_add_co_ci_u32_e64 v2, null, s39, v2, s0
	global_store_dword v[1:2], v3, off
	s_andn2_b32 exec_lo, exec_lo, s7
	s_cbranch_execz .LBB14_109
.LBB14_102:                             ; =>This Loop Header: Depth=1
                                        ;     Child Loop BB14_104 Depth 2
                                        ;     Child Loop BB14_108 Depth 2
	v_lshl_add_u32 v1, v0, 2, 0
	s_andn2_b32 vcc_lo, exec_lo, s4
	s_mov_b32 s0, 0
	ds_read_b32 v3, v1
	v_mov_b32_e32 v1, s3
	s_cbranch_vccnz .LBB14_106
; %bb.103:                              ;   in Loop: Header=BB14_102 Depth=1
	v_mov_b32_e32 v1, s3
	s_mov_b32 s8, 0
	s_inst_prefetch 0x1
	.p2align	6
.LBB14_104:                             ;   Parent Loop BB14_102 Depth=1
                                        ; =>  This Inner Loop Header: Depth=2
	v_mov_b32_e32 v2, s8
	s_add_i32 s0, s0, 8
	s_add_i32 s8, s8, 32
	s_cmp_eq_u32 s5, s0
	ds_read2_b32 v[4:5], v2 offset1:1
	ds_read2_b32 v[6:7], v2 offset0:2 offset1:3
	ds_read2_b32 v[8:9], v2 offset0:4 offset1:5
	;; [unrolled: 1-line block ×3, first 2 shown]
	s_waitcnt lgkmcnt(3)
	v_cmp_gt_i32_e32 vcc_lo, v3, v4
	v_cndmask_b32_e64 v2, 0, 1, vcc_lo
	s_waitcnt lgkmcnt(2)
	v_cmp_gt_i32_e32 vcc_lo, v3, v6
	v_cndmask_b32_e64 v4, 0, 1, vcc_lo
	v_cmp_gt_i32_e32 vcc_lo, v3, v5
	v_add_co_ci_u32_e64 v1, null, v1, v2, vcc_lo
	s_waitcnt lgkmcnt(1)
	v_cmp_gt_i32_e32 vcc_lo, v3, v8
	v_cndmask_b32_e64 v2, 0, 1, vcc_lo
	v_cmp_gt_i32_e32 vcc_lo, v3, v7
	v_add_co_ci_u32_e64 v1, null, v1, v4, vcc_lo
	;; [unrolled: 5-line block ×3, first 2 shown]
	v_cmp_gt_i32_e32 vcc_lo, v3, v11
	v_add_co_ci_u32_e64 v1, null, v1, v4, vcc_lo
	s_cbranch_scc0 .LBB14_104
; %bb.105:                              ;   in Loop: Header=BB14_102 Depth=1
	s_inst_prefetch 0x2
	s_mov_b32 s0, s5
.LBB14_106:                             ;   in Loop: Header=BB14_102 Depth=1
	s_andn2_b32 vcc_lo, exec_lo, s6
	s_cbranch_vccnz .LBB14_101
; %bb.107:                              ;   in Loop: Header=BB14_102 Depth=1
	s_lshl_b32 s0, s0, 2
	s_mov_b32 s8, s1
	s_add_i32 s0, s0, 0
.LBB14_108:                             ;   Parent Loop BB14_102 Depth=1
                                        ; =>  This Inner Loop Header: Depth=2
	v_mov_b32_e32 v2, s0
	s_add_i32 s8, s8, -1
	s_add_i32 s0, s0, 4
	s_cmp_lg_u32 s8, 0
	ds_read_b32 v2, v2
	s_waitcnt lgkmcnt(0)
	v_cmp_gt_i32_e32 vcc_lo, v3, v2
	v_add_co_ci_u32_e64 v1, null, 0, v1, vcc_lo
	s_cbranch_scc1 .LBB14_108
	s_branch .LBB14_101
.LBB14_109:
	s_endpgm
	.section	.rodata,"a",@progbits
	.p2align	6, 0x0
	.amdhsa_kernel _ZN9rocsparseL35csrgemm_symbolic_fill_block_per_rowILj1024ELj64ELj4096ELj137ELj32EiiEEvT5_PKS1_S3_PKT4_S3_S6_S3_S6_S3_S6_PS1_21rocsparse_index_base_S8_S8_S8_bb
		.amdhsa_group_segment_fixed_size 0
		.amdhsa_private_segment_fixed_size 0
		.amdhsa_kernarg_size 108
		.amdhsa_user_sgpr_count 6
		.amdhsa_user_sgpr_private_segment_buffer 1
		.amdhsa_user_sgpr_dispatch_ptr 0
		.amdhsa_user_sgpr_queue_ptr 0
		.amdhsa_user_sgpr_kernarg_segment_ptr 1
		.amdhsa_user_sgpr_dispatch_id 0
		.amdhsa_user_sgpr_flat_scratch_init 0
		.amdhsa_user_sgpr_private_segment_size 0
		.amdhsa_wavefront_size32 1
		.amdhsa_uses_dynamic_stack 0
		.amdhsa_system_sgpr_private_segment_wavefront_offset 0
		.amdhsa_system_sgpr_workgroup_id_x 1
		.amdhsa_system_sgpr_workgroup_id_y 0
		.amdhsa_system_sgpr_workgroup_id_z 0
		.amdhsa_system_sgpr_workgroup_info 0
		.amdhsa_system_vgpr_workitem_id 0
		.amdhsa_next_free_vgpr 12
		.amdhsa_next_free_sgpr 44
		.amdhsa_reserve_vcc 1
		.amdhsa_reserve_flat_scratch 0
		.amdhsa_float_round_mode_32 0
		.amdhsa_float_round_mode_16_64 0
		.amdhsa_float_denorm_mode_32 3
		.amdhsa_float_denorm_mode_16_64 3
		.amdhsa_dx10_clamp 1
		.amdhsa_ieee_mode 1
		.amdhsa_fp16_overflow 0
		.amdhsa_workgroup_processor_mode 1
		.amdhsa_memory_ordered 1
		.amdhsa_forward_progress 1
		.amdhsa_shared_vgpr_count 0
		.amdhsa_exception_fp_ieee_invalid_op 0
		.amdhsa_exception_fp_denorm_src 0
		.amdhsa_exception_fp_ieee_div_zero 0
		.amdhsa_exception_fp_ieee_overflow 0
		.amdhsa_exception_fp_ieee_underflow 0
		.amdhsa_exception_fp_ieee_inexact 0
		.amdhsa_exception_int_div_zero 0
	.end_amdhsa_kernel
	.section	.text._ZN9rocsparseL35csrgemm_symbolic_fill_block_per_rowILj1024ELj64ELj4096ELj137ELj32EiiEEvT5_PKS1_S3_PKT4_S3_S6_S3_S6_S3_S6_PS1_21rocsparse_index_base_S8_S8_S8_bb,"axG",@progbits,_ZN9rocsparseL35csrgemm_symbolic_fill_block_per_rowILj1024ELj64ELj4096ELj137ELj32EiiEEvT5_PKS1_S3_PKT4_S3_S6_S3_S6_S3_S6_PS1_21rocsparse_index_base_S8_S8_S8_bb,comdat
.Lfunc_end14:
	.size	_ZN9rocsparseL35csrgemm_symbolic_fill_block_per_rowILj1024ELj64ELj4096ELj137ELj32EiiEEvT5_PKS1_S3_PKT4_S3_S6_S3_S6_S3_S6_PS1_21rocsparse_index_base_S8_S8_S8_bb, .Lfunc_end14-_ZN9rocsparseL35csrgemm_symbolic_fill_block_per_rowILj1024ELj64ELj4096ELj137ELj32EiiEEvT5_PKS1_S3_PKT4_S3_S6_S3_S6_S3_S6_PS1_21rocsparse_index_base_S8_S8_S8_bb
                                        ; -- End function
	.set _ZN9rocsparseL35csrgemm_symbolic_fill_block_per_rowILj1024ELj64ELj4096ELj137ELj32EiiEEvT5_PKS1_S3_PKT4_S3_S6_S3_S6_S3_S6_PS1_21rocsparse_index_base_S8_S8_S8_bb.num_vgpr, 12
	.set _ZN9rocsparseL35csrgemm_symbolic_fill_block_per_rowILj1024ELj64ELj4096ELj137ELj32EiiEEvT5_PKS1_S3_PKT4_S3_S6_S3_S6_S3_S6_PS1_21rocsparse_index_base_S8_S8_S8_bb.num_agpr, 0
	.set _ZN9rocsparseL35csrgemm_symbolic_fill_block_per_rowILj1024ELj64ELj4096ELj137ELj32EiiEEvT5_PKS1_S3_PKT4_S3_S6_S3_S6_S3_S6_PS1_21rocsparse_index_base_S8_S8_S8_bb.numbered_sgpr, 44
	.set _ZN9rocsparseL35csrgemm_symbolic_fill_block_per_rowILj1024ELj64ELj4096ELj137ELj32EiiEEvT5_PKS1_S3_PKT4_S3_S6_S3_S6_S3_S6_PS1_21rocsparse_index_base_S8_S8_S8_bb.num_named_barrier, 0
	.set _ZN9rocsparseL35csrgemm_symbolic_fill_block_per_rowILj1024ELj64ELj4096ELj137ELj32EiiEEvT5_PKS1_S3_PKT4_S3_S6_S3_S6_S3_S6_PS1_21rocsparse_index_base_S8_S8_S8_bb.private_seg_size, 0
	.set _ZN9rocsparseL35csrgemm_symbolic_fill_block_per_rowILj1024ELj64ELj4096ELj137ELj32EiiEEvT5_PKS1_S3_PKT4_S3_S6_S3_S6_S3_S6_PS1_21rocsparse_index_base_S8_S8_S8_bb.uses_vcc, 1
	.set _ZN9rocsparseL35csrgemm_symbolic_fill_block_per_rowILj1024ELj64ELj4096ELj137ELj32EiiEEvT5_PKS1_S3_PKT4_S3_S6_S3_S6_S3_S6_PS1_21rocsparse_index_base_S8_S8_S8_bb.uses_flat_scratch, 0
	.set _ZN9rocsparseL35csrgemm_symbolic_fill_block_per_rowILj1024ELj64ELj4096ELj137ELj32EiiEEvT5_PKS1_S3_PKT4_S3_S6_S3_S6_S3_S6_PS1_21rocsparse_index_base_S8_S8_S8_bb.has_dyn_sized_stack, 0
	.set _ZN9rocsparseL35csrgemm_symbolic_fill_block_per_rowILj1024ELj64ELj4096ELj137ELj32EiiEEvT5_PKS1_S3_PKT4_S3_S6_S3_S6_S3_S6_PS1_21rocsparse_index_base_S8_S8_S8_bb.has_recursion, 0
	.set _ZN9rocsparseL35csrgemm_symbolic_fill_block_per_rowILj1024ELj64ELj4096ELj137ELj32EiiEEvT5_PKS1_S3_PKT4_S3_S6_S3_S6_S3_S6_PS1_21rocsparse_index_base_S8_S8_S8_bb.has_indirect_call, 0
	.section	.AMDGPU.csdata,"",@progbits
; Kernel info:
; codeLenInByte = 3508
; TotalNumSgprs: 46
; NumVgprs: 12
; ScratchSize: 0
; MemoryBound: 0
; FloatMode: 240
; IeeeMode: 1
; LDSByteSize: 0 bytes/workgroup (compile time only)
; SGPRBlocks: 0
; VGPRBlocks: 1
; NumSGPRsForWavesPerEU: 46
; NumVGPRsForWavesPerEU: 12
; Occupancy: 16
; WaveLimiterHint : 1
; COMPUTE_PGM_RSRC2:SCRATCH_EN: 0
; COMPUTE_PGM_RSRC2:USER_SGPR: 6
; COMPUTE_PGM_RSRC2:TRAP_HANDLER: 0
; COMPUTE_PGM_RSRC2:TGID_X_EN: 1
; COMPUTE_PGM_RSRC2:TGID_Y_EN: 0
; COMPUTE_PGM_RSRC2:TGID_Z_EN: 0
; COMPUTE_PGM_RSRC2:TIDIG_COMP_CNT: 0
	.section	.text._ZN9rocsparseL35csrgemm_symbolic_fill_block_per_rowILj1024ELj64ELj4096ELj137ELj64EiiEEvT5_PKS1_S3_PKT4_S3_S6_S3_S6_S3_S6_PS1_21rocsparse_index_base_S8_S8_S8_bb,"axG",@progbits,_ZN9rocsparseL35csrgemm_symbolic_fill_block_per_rowILj1024ELj64ELj4096ELj137ELj64EiiEEvT5_PKS1_S3_PKT4_S3_S6_S3_S6_S3_S6_PS1_21rocsparse_index_base_S8_S8_S8_bb,comdat
	.globl	_ZN9rocsparseL35csrgemm_symbolic_fill_block_per_rowILj1024ELj64ELj4096ELj137ELj64EiiEEvT5_PKS1_S3_PKT4_S3_S6_S3_S6_S3_S6_PS1_21rocsparse_index_base_S8_S8_S8_bb ; -- Begin function _ZN9rocsparseL35csrgemm_symbolic_fill_block_per_rowILj1024ELj64ELj4096ELj137ELj64EiiEEvT5_PKS1_S3_PKT4_S3_S6_S3_S6_S3_S6_PS1_21rocsparse_index_base_S8_S8_S8_bb
	.p2align	8
	.type	_ZN9rocsparseL35csrgemm_symbolic_fill_block_per_rowILj1024ELj64ELj4096ELj137ELj64EiiEEvT5_PKS1_S3_PKT4_S3_S6_S3_S6_S3_S6_PS1_21rocsparse_index_base_S8_S8_S8_bb,@function
_ZN9rocsparseL35csrgemm_symbolic_fill_block_per_rowILj1024ELj64ELj4096ELj137ELj64EiiEEvT5_PKS1_S3_PKT4_S3_S6_S3_S6_S3_S6_PS1_21rocsparse_index_base_S8_S8_S8_bb: ; @_ZN9rocsparseL35csrgemm_symbolic_fill_block_per_rowILj1024ELj64ELj4096ELj137ELj64EiiEEvT5_PKS1_S3_PKT4_S3_S6_S3_S6_S3_S6_PS1_21rocsparse_index_base_S8_S8_S8_bb
; %bb.0:
	s_clause 0x3
	s_load_dword s30, s[4:5], 0x0
	s_load_dwordx4 s[24:27], s[4:5], 0x48
	s_load_dwordx8 s[8:15], s[4:5], 0x28
	s_load_dwordx8 s[16:23], s[4:5], 0x8
	v_lshl_add_u32 v4, v0, 2, 0
	v_or_b32_e32 v5, 0xfffffc00, v0
	s_mov_b32 s0, 0
	v_mov_b32_e32 v1, v4
	v_mov_b32_e32 v3, v5
	s_waitcnt lgkmcnt(0)
	v_mov_b32_e32 v2, s30
.LBB15_1:                               ; =>This Inner Loop Header: Depth=1
	v_add_nc_u32_e32 v3, 0x400, v3
	ds_write_b32 v1, v2
	v_add_nc_u32_e32 v1, 0x1000, v1
	v_cmp_lt_u32_e32 vcc_lo, 0xbff, v3
	s_or_b32 s0, vcc_lo, s0
	s_andn2_b32 exec_lo, exec_lo, s0
	s_cbranch_execnz .LBB15_1
; %bb.2:
	s_or_b32 exec_lo, exec_lo, s0
	s_load_dword s0, s[4:5], 0x68
	s_waitcnt lgkmcnt(0)
	s_barrier
	buffer_gl0_inv
	s_load_dword s1, s[16:17], 0x0
	s_mov_b32 s3, 0
	v_lshrrev_b32_e32 v6, 6, v0
	s_bitcmp1_b32 s0, 0
	s_cselect_b32 s7, -1, 0
	s_waitcnt lgkmcnt(0)
	s_add_i32 s2, s1, s6
	s_lshl_b64 s[2:3], s[2:3], 2
	s_add_u32 s2, s18, s2
	s_addc_u32 s3, s19, s3
	s_load_dwordx4 s[16:19], s[4:5], 0x58
	s_load_dword s28, s[2:3], 0x0
	s_and_b32 vcc_lo, exec_lo, s7
	s_cbranch_vccz .LBB15_18
; %bb.3:
	s_waitcnt lgkmcnt(0)
	s_ashr_i32 s29, s28, 31
	v_subrev_nc_u32_e32 v1, s16, v6
	s_lshl_b64 s[2:3], s[28:29], 2
	s_add_u32 s2, s20, s2
	s_addc_u32 s3, s21, s3
	s_load_dwordx2 s[2:3], s[2:3], 0x0
	s_waitcnt lgkmcnt(0)
	v_add_nc_u32_e32 v1, s2, v1
	s_sub_i32 s1, s3, s16
	s_mov_b32 s2, exec_lo
	v_cmpx_gt_i32_e64 s1, v1
	s_cbranch_execz .LBB15_17
; %bb.4:
	v_and_b32_e32 v2, 63, v0
	s_mov_b32 s3, 0
	v_subrev_nc_u32_e32 v7, s17, v2
	s_branch .LBB15_6
.LBB15_5:                               ;   in Loop: Header=BB15_6 Depth=1
	s_or_b32 exec_lo, exec_lo, s4
	v_add_nc_u32_e32 v1, 16, v1
	v_cmp_le_i32_e32 vcc_lo, s1, v1
	s_or_b32 s3, vcc_lo, s3
	s_andn2_b32 exec_lo, exec_lo, s3
	s_cbranch_execz .LBB15_17
.LBB15_6:                               ; =>This Loop Header: Depth=1
                                        ;     Child Loop BB15_9 Depth 2
                                        ;       Child Loop BB15_12 Depth 3
	v_ashrrev_i32_e32 v2, 31, v1
	s_mov_b32 s4, exec_lo
	v_lshlrev_b64 v[2:3], 2, v[1:2]
	v_add_co_u32 v2, vcc_lo, s22, v2
	v_add_co_ci_u32_e64 v3, null, s23, v3, vcc_lo
	global_load_dword v2, v[2:3], off
	s_waitcnt vmcnt(0)
	v_subrev_nc_u32_e32 v2, s16, v2
	v_ashrrev_i32_e32 v3, 31, v2
	v_lshlrev_b64 v[2:3], 2, v[2:3]
	v_add_co_u32 v2, vcc_lo, s8, v2
	v_add_co_ci_u32_e64 v3, null, s9, v3, vcc_lo
	global_load_dwordx2 v[2:3], v[2:3], off
	s_waitcnt vmcnt(0)
	v_subrev_nc_u32_e32 v8, s17, v3
	v_add_nc_u32_e32 v2, v2, v7
	v_cmpx_lt_i32_e64 v2, v8
	s_cbranch_execz .LBB15_5
; %bb.7:                                ;   in Loop: Header=BB15_6 Depth=1
	s_mov_b32 s5, 0
	s_branch .LBB15_9
.LBB15_8:                               ;   in Loop: Header=BB15_9 Depth=2
	s_inst_prefetch 0x2
	s_or_b32 exec_lo, exec_lo, s6
	v_add_nc_u32_e32 v2, 64, v2
	v_cmp_ge_i32_e32 vcc_lo, v2, v8
	s_or_b32 s5, vcc_lo, s5
	s_andn2_b32 exec_lo, exec_lo, s5
	s_cbranch_execz .LBB15_5
.LBB15_9:                               ;   Parent Loop BB15_6 Depth=1
                                        ; =>  This Loop Header: Depth=2
                                        ;       Child Loop BB15_12 Depth 3
	v_ashrrev_i32_e32 v3, 31, v2
	s_mov_b32 s6, 0
                                        ; implicit-def: $sgpr7
	v_lshlrev_b64 v[9:10], 2, v[2:3]
	v_add_co_u32 v9, vcc_lo, s10, v9
	v_add_co_ci_u32_e64 v10, null, s11, v10, vcc_lo
	global_load_dword v3, v[9:10], off
	s_waitcnt vmcnt(0)
	v_subrev_nc_u32_e32 v3, s17, v3
	v_mul_lo_u32 v9, 0x89, v3
	v_and_b32_e32 v9, 0xfff, v9
	s_inst_prefetch 0x1
	s_branch .LBB15_12
	.p2align	6
.LBB15_10:                              ;   in Loop: Header=BB15_12 Depth=3
	s_or_b32 exec_lo, exec_lo, s21
	s_andn2_b32 s7, s7, exec_lo
	s_and_b32 s21, s29, exec_lo
	s_or_b32 s7, s7, s21
.LBB15_11:                              ;   in Loop: Header=BB15_12 Depth=3
	s_or_b32 exec_lo, exec_lo, s20
	s_xor_b32 s20, s7, -1
	s_and_b32 s20, exec_lo, s20
	s_or_b32 s6, s20, s6
	s_andn2_b32 exec_lo, exec_lo, s6
	s_cbranch_execz .LBB15_8
.LBB15_12:                              ;   Parent Loop BB15_6 Depth=1
                                        ;     Parent Loop BB15_9 Depth=2
                                        ; =>    This Inner Loop Header: Depth=3
	v_lshl_add_u32 v10, v9, 2, 0
	s_andn2_b32 s7, s7, exec_lo
	s_mov_b32 s20, exec_lo
	ds_read_b32 v11, v10
	s_waitcnt lgkmcnt(0)
	v_cmpx_ne_u32_e64 v11, v3
	s_cbranch_execz .LBB15_11
; %bb.13:                               ;   in Loop: Header=BB15_12 Depth=3
	s_mov_b32 s21, exec_lo
	v_cmpx_ne_u32_e64 s30, v11
	s_xor_b32 s21, exec_lo, s21
; %bb.14:                               ;   in Loop: Header=BB15_12 Depth=3
	v_add_nc_u32_e32 v9, 1, v9
                                        ; implicit-def: $vgpr10
	v_and_b32_e32 v9, 0xfff, v9
; %bb.15:                               ;   in Loop: Header=BB15_12 Depth=3
	s_or_saveexec_b32 s21, s21
	s_mov_b32 s29, -1
	s_xor_b32 exec_lo, exec_lo, s21
	s_cbranch_execz .LBB15_10
; %bb.16:                               ;   in Loop: Header=BB15_12 Depth=3
	v_mov_b32_e32 v11, s30
	ds_cmpst_rtn_b32 v10, v10, v11, v3
	s_waitcnt lgkmcnt(0)
	v_cmp_ne_u32_e32 vcc_lo, s30, v10
	s_orn2_b32 s29, vcc_lo, exec_lo
	s_branch .LBB15_10
.LBB15_17:
	s_or_b32 exec_lo, exec_lo, s2
.LBB15_18:
	s_bfe_u32 s0, s0, 0x10008
	s_cmp_eq_u32 s0, 0
	s_cbranch_scc1 .LBB15_31
; %bb.19:
	s_waitcnt lgkmcnt(0)
	s_ashr_i32 s29, s28, 31
	v_subrev_nc_u32_e32 v1, s19, v0
	s_lshl_b64 s[0:1], s[28:29], 2
	s_add_u32 s0, s12, s0
	s_addc_u32 s1, s13, s1
	s_load_dwordx2 s[0:1], s[0:1], 0x0
	s_waitcnt lgkmcnt(0)
	v_add_nc_u32_e32 v1, s0, v1
	s_sub_i32 s0, s1, s19
	s_mov_b32 s1, exec_lo
	v_cmpx_gt_i32_e64 s0, v1
	s_cbranch_execz .LBB15_30
; %bb.20:
	s_mov_b32 s2, 0
	s_branch .LBB15_22
.LBB15_21:                              ;   in Loop: Header=BB15_22 Depth=1
	s_inst_prefetch 0x2
	s_or_b32 exec_lo, exec_lo, s3
	v_add_nc_u32_e32 v1, 0x400, v1
	v_cmp_le_i32_e32 vcc_lo, s0, v1
	s_or_b32 s2, vcc_lo, s2
	s_andn2_b32 exec_lo, exec_lo, s2
	s_cbranch_execz .LBB15_30
.LBB15_22:                              ; =>This Loop Header: Depth=1
                                        ;     Child Loop BB15_25 Depth 2
	v_ashrrev_i32_e32 v2, 31, v1
	s_mov_b32 s3, 0
                                        ; implicit-def: $sgpr4
	v_lshlrev_b64 v[2:3], 2, v[1:2]
	v_add_co_u32 v2, vcc_lo, s14, v2
	v_add_co_ci_u32_e64 v3, null, s15, v3, vcc_lo
	global_load_dword v2, v[2:3], off
	s_waitcnt vmcnt(0)
	v_subrev_nc_u32_e32 v2, s19, v2
	v_mul_lo_u32 v3, 0x89, v2
	v_and_b32_e32 v3, 0xfff, v3
	s_inst_prefetch 0x1
	s_branch .LBB15_25
	.p2align	6
.LBB15_23:                              ;   in Loop: Header=BB15_25 Depth=2
	s_or_b32 exec_lo, exec_lo, s6
	s_andn2_b32 s4, s4, exec_lo
	s_and_b32 s6, s7, exec_lo
	s_or_b32 s4, s4, s6
.LBB15_24:                              ;   in Loop: Header=BB15_25 Depth=2
	s_or_b32 exec_lo, exec_lo, s5
	s_xor_b32 s5, s4, -1
	s_and_b32 s5, exec_lo, s5
	s_or_b32 s3, s5, s3
	s_andn2_b32 exec_lo, exec_lo, s3
	s_cbranch_execz .LBB15_21
.LBB15_25:                              ;   Parent Loop BB15_22 Depth=1
                                        ; =>  This Inner Loop Header: Depth=2
	v_lshl_add_u32 v7, v3, 2, 0
	s_andn2_b32 s4, s4, exec_lo
	s_mov_b32 s5, exec_lo
	ds_read_b32 v8, v7
	s_waitcnt lgkmcnt(0)
	v_cmpx_ne_u32_e64 v8, v2
	s_cbranch_execz .LBB15_24
; %bb.26:                               ;   in Loop: Header=BB15_25 Depth=2
	s_mov_b32 s6, exec_lo
	v_cmpx_ne_u32_e64 s30, v8
	s_xor_b32 s6, exec_lo, s6
; %bb.27:                               ;   in Loop: Header=BB15_25 Depth=2
	v_add_nc_u32_e32 v3, 1, v3
                                        ; implicit-def: $vgpr7
	v_and_b32_e32 v3, 0xfff, v3
; %bb.28:                               ;   in Loop: Header=BB15_25 Depth=2
	s_or_saveexec_b32 s6, s6
	s_mov_b32 s7, -1
	s_xor_b32 exec_lo, exec_lo, s6
	s_cbranch_execz .LBB15_23
; %bb.29:                               ;   in Loop: Header=BB15_25 Depth=2
	v_mov_b32_e32 v8, s30
	ds_cmpst_rtn_b32 v7, v7, v8, v2
	s_waitcnt lgkmcnt(0)
	v_cmp_ne_u32_e32 vcc_lo, s30, v7
	s_orn2_b32 s7, vcc_lo, exec_lo
	s_branch .LBB15_23
.LBB15_30:
	s_or_b32 exec_lo, exec_lo, s1
.LBB15_31:
	v_mbcnt_lo_u32_b32 v3, -1, 0
	v_mov_b32_e32 v1, 0
	v_lshl_add_u32 v2, v6, 2, 0
	v_cmp_lt_u32_e64 s0, 63, v0
	v_cmp_lt_u32_e64 s1, 0x7f, v0
	v_xor_b32_e32 v3, 31, v3
	v_cmp_lt_u32_e64 s2, 0xbf, v0
	v_cmp_lt_u32_e64 s3, 0xff, v0
	;; [unrolled: 1-line block ×4, first 2 shown]
	v_lshrrev_b32_e64 v3, v3, -1
	v_cmp_lt_u32_e64 s6, 0x1bf, v0
	v_cmp_lt_u32_e64 s7, 0x1ff, v0
	;; [unrolled: 1-line block ×9, first 2 shown]
	v_mov_b32_e32 v6, 0
	s_waitcnt lgkmcnt(0)
	s_mov_b32 s16, 0
	v_cmp_eq_u32_e32 vcc_lo, 0x3ff, v0
	s_barrier
	buffer_gl0_inv
	s_branch .LBB15_33
.LBB15_32:                              ;   in Loop: Header=BB15_33 Depth=1
	s_or_b32 exec_lo, exec_lo, s15
	s_waitcnt lgkmcnt(0)
	s_barrier
	buffer_gl0_inv
	ds_read_b32 v7, v1 offset:16444
	v_add_nc_u32_e32 v5, 0x400, v5
	v_add_nc_u32_e32 v4, 0x1000, v4
	v_cmp_lt_u32_e64 s15, 0xbff, v5
	s_or_b32 s16, s15, s16
	s_waitcnt lgkmcnt(0)
	v_add_nc_u32_e32 v6, v7, v6
	s_andn2_b32 exec_lo, exec_lo, s16
	s_cbranch_execz .LBB15_67
.LBB15_33:                              ; =>This Inner Loop Header: Depth=1
	ds_read_b32 v7, v4
	s_waitcnt lgkmcnt(0)
	s_barrier
	buffer_gl0_inv
	v_cmp_gt_i32_e64 s15, s30, v7
	v_and_b32_e32 v8, s15, v3
	s_bcnt1_i32_b32 s17, s15
	v_mov_b32_e32 v9, s17
	v_bcnt_u32_b32 v8, v8, 0
	ds_write_b32 v2, v9 offset:16384
	s_waitcnt lgkmcnt(0)
	s_barrier
	buffer_gl0_inv
	s_and_saveexec_b32 s17, s0
	s_cbranch_execnz .LBB15_50
; %bb.34:                               ;   in Loop: Header=BB15_33 Depth=1
	s_or_b32 exec_lo, exec_lo, s17
	s_and_saveexec_b32 s17, s1
	s_cbranch_execnz .LBB15_51
.LBB15_35:                              ;   in Loop: Header=BB15_33 Depth=1
	s_or_b32 exec_lo, exec_lo, s17
	s_and_saveexec_b32 s17, s2
	s_cbranch_execnz .LBB15_52
.LBB15_36:                              ;   in Loop: Header=BB15_33 Depth=1
	s_or_b32 exec_lo, exec_lo, s17
	s_and_saveexec_b32 s17, s3
	s_cbranch_execnz .LBB15_53
.LBB15_37:                              ;   in Loop: Header=BB15_33 Depth=1
	s_or_b32 exec_lo, exec_lo, s17
	s_and_saveexec_b32 s17, s4
	s_cbranch_execnz .LBB15_54
.LBB15_38:                              ;   in Loop: Header=BB15_33 Depth=1
	s_or_b32 exec_lo, exec_lo, s17
	s_and_saveexec_b32 s17, s5
	s_cbranch_execnz .LBB15_55
.LBB15_39:                              ;   in Loop: Header=BB15_33 Depth=1
	s_or_b32 exec_lo, exec_lo, s17
	s_and_saveexec_b32 s17, s6
	s_cbranch_execnz .LBB15_56
.LBB15_40:                              ;   in Loop: Header=BB15_33 Depth=1
	s_or_b32 exec_lo, exec_lo, s17
	s_and_saveexec_b32 s17, s7
	s_cbranch_execnz .LBB15_57
.LBB15_41:                              ;   in Loop: Header=BB15_33 Depth=1
	s_or_b32 exec_lo, exec_lo, s17
	s_and_saveexec_b32 s17, s8
	s_cbranch_execnz .LBB15_58
.LBB15_42:                              ;   in Loop: Header=BB15_33 Depth=1
	s_or_b32 exec_lo, exec_lo, s17
	s_and_saveexec_b32 s17, s9
	s_cbranch_execnz .LBB15_59
.LBB15_43:                              ;   in Loop: Header=BB15_33 Depth=1
	s_or_b32 exec_lo, exec_lo, s17
	s_and_saveexec_b32 s17, s10
	s_cbranch_execnz .LBB15_60
.LBB15_44:                              ;   in Loop: Header=BB15_33 Depth=1
	s_or_b32 exec_lo, exec_lo, s17
	s_and_saveexec_b32 s17, s11
	s_cbranch_execnz .LBB15_61
.LBB15_45:                              ;   in Loop: Header=BB15_33 Depth=1
	s_or_b32 exec_lo, exec_lo, s17
	s_and_saveexec_b32 s17, s12
	s_cbranch_execnz .LBB15_62
.LBB15_46:                              ;   in Loop: Header=BB15_33 Depth=1
	s_or_b32 exec_lo, exec_lo, s17
	s_and_saveexec_b32 s17, s13
	s_cbranch_execnz .LBB15_63
.LBB15_47:                              ;   in Loop: Header=BB15_33 Depth=1
	s_or_b32 exec_lo, exec_lo, s17
	s_and_saveexec_b32 s17, s14
	s_cbranch_execnz .LBB15_64
.LBB15_48:                              ;   in Loop: Header=BB15_33 Depth=1
	s_or_b32 exec_lo, exec_lo, s17
	s_and_saveexec_b32 s17, s15
	s_cbranch_execnz .LBB15_65
.LBB15_49:                              ;   in Loop: Header=BB15_33 Depth=1
	s_or_b32 exec_lo, exec_lo, s17
	s_and_saveexec_b32 s15, vcc_lo
	s_cbranch_execz .LBB15_32
	s_branch .LBB15_66
.LBB15_50:                              ;   in Loop: Header=BB15_33 Depth=1
	ds_read_b32 v9, v1 offset:16384
	s_waitcnt lgkmcnt(0)
	v_add_nc_u32_e32 v8, v9, v8
	s_or_b32 exec_lo, exec_lo, s17
	s_and_saveexec_b32 s17, s1
	s_cbranch_execz .LBB15_35
.LBB15_51:                              ;   in Loop: Header=BB15_33 Depth=1
	ds_read_b32 v9, v1 offset:16388
	s_waitcnt lgkmcnt(0)
	v_add_nc_u32_e32 v8, v9, v8
	s_or_b32 exec_lo, exec_lo, s17
	s_and_saveexec_b32 s17, s2
	s_cbranch_execz .LBB15_36
.LBB15_52:                              ;   in Loop: Header=BB15_33 Depth=1
	ds_read_b32 v9, v1 offset:16392
	s_waitcnt lgkmcnt(0)
	v_add_nc_u32_e32 v8, v9, v8
	s_or_b32 exec_lo, exec_lo, s17
	s_and_saveexec_b32 s17, s3
	s_cbranch_execz .LBB15_37
.LBB15_53:                              ;   in Loop: Header=BB15_33 Depth=1
	ds_read_b32 v9, v1 offset:16396
	s_waitcnt lgkmcnt(0)
	v_add_nc_u32_e32 v8, v9, v8
	s_or_b32 exec_lo, exec_lo, s17
	s_and_saveexec_b32 s17, s4
	s_cbranch_execz .LBB15_38
.LBB15_54:                              ;   in Loop: Header=BB15_33 Depth=1
	ds_read_b32 v9, v1 offset:16400
	s_waitcnt lgkmcnt(0)
	v_add_nc_u32_e32 v8, v9, v8
	s_or_b32 exec_lo, exec_lo, s17
	s_and_saveexec_b32 s17, s5
	s_cbranch_execz .LBB15_39
.LBB15_55:                              ;   in Loop: Header=BB15_33 Depth=1
	ds_read_b32 v9, v1 offset:16404
	s_waitcnt lgkmcnt(0)
	v_add_nc_u32_e32 v8, v9, v8
	s_or_b32 exec_lo, exec_lo, s17
	s_and_saveexec_b32 s17, s6
	s_cbranch_execz .LBB15_40
.LBB15_56:                              ;   in Loop: Header=BB15_33 Depth=1
	ds_read_b32 v9, v1 offset:16408
	s_waitcnt lgkmcnt(0)
	v_add_nc_u32_e32 v8, v9, v8
	s_or_b32 exec_lo, exec_lo, s17
	s_and_saveexec_b32 s17, s7
	s_cbranch_execz .LBB15_41
.LBB15_57:                              ;   in Loop: Header=BB15_33 Depth=1
	ds_read_b32 v9, v1 offset:16412
	s_waitcnt lgkmcnt(0)
	v_add_nc_u32_e32 v8, v9, v8
	s_or_b32 exec_lo, exec_lo, s17
	s_and_saveexec_b32 s17, s8
	s_cbranch_execz .LBB15_42
.LBB15_58:                              ;   in Loop: Header=BB15_33 Depth=1
	ds_read_b32 v9, v1 offset:16416
	s_waitcnt lgkmcnt(0)
	v_add_nc_u32_e32 v8, v9, v8
	s_or_b32 exec_lo, exec_lo, s17
	s_and_saveexec_b32 s17, s9
	s_cbranch_execz .LBB15_43
.LBB15_59:                              ;   in Loop: Header=BB15_33 Depth=1
	ds_read_b32 v9, v1 offset:16420
	s_waitcnt lgkmcnt(0)
	v_add_nc_u32_e32 v8, v9, v8
	s_or_b32 exec_lo, exec_lo, s17
	s_and_saveexec_b32 s17, s10
	s_cbranch_execz .LBB15_44
.LBB15_60:                              ;   in Loop: Header=BB15_33 Depth=1
	ds_read_b32 v9, v1 offset:16424
	s_waitcnt lgkmcnt(0)
	v_add_nc_u32_e32 v8, v9, v8
	s_or_b32 exec_lo, exec_lo, s17
	s_and_saveexec_b32 s17, s11
	s_cbranch_execz .LBB15_45
.LBB15_61:                              ;   in Loop: Header=BB15_33 Depth=1
	ds_read_b32 v9, v1 offset:16428
	s_waitcnt lgkmcnt(0)
	v_add_nc_u32_e32 v8, v9, v8
	s_or_b32 exec_lo, exec_lo, s17
	s_and_saveexec_b32 s17, s12
	s_cbranch_execz .LBB15_46
.LBB15_62:                              ;   in Loop: Header=BB15_33 Depth=1
	ds_read_b32 v9, v1 offset:16432
	s_waitcnt lgkmcnt(0)
	v_add_nc_u32_e32 v8, v9, v8
	s_or_b32 exec_lo, exec_lo, s17
	s_and_saveexec_b32 s17, s13
	s_cbranch_execz .LBB15_47
.LBB15_63:                              ;   in Loop: Header=BB15_33 Depth=1
	ds_read_b32 v9, v1 offset:16436
	s_waitcnt lgkmcnt(0)
	v_add_nc_u32_e32 v8, v9, v8
	s_or_b32 exec_lo, exec_lo, s17
	s_and_saveexec_b32 s17, s14
	s_cbranch_execz .LBB15_48
.LBB15_64:                              ;   in Loop: Header=BB15_33 Depth=1
	ds_read_b32 v9, v1 offset:16440
	s_waitcnt lgkmcnt(0)
	v_add_nc_u32_e32 v8, v9, v8
	s_or_b32 exec_lo, exec_lo, s17
	s_and_saveexec_b32 s17, s15
	s_cbranch_execz .LBB15_49
.LBB15_65:                              ;   in Loop: Header=BB15_33 Depth=1
	v_lshlrev_b32_e32 v9, 2, v6
	v_lshlrev_b32_e32 v10, 2, v8
	v_add_nc_u32_e32 v9, 0, v9
	v_add3_u32 v9, v9, v10, -4
	ds_write_b32 v9, v7
	s_or_b32 exec_lo, exec_lo, s17
	s_and_saveexec_b32 s15, vcc_lo
	s_cbranch_execz .LBB15_32
.LBB15_66:                              ;   in Loop: Header=BB15_33 Depth=1
	ds_write_b32 v1, v8 offset:16444
	s_branch .LBB15_32
.LBB15_67:
	s_or_b32 exec_lo, exec_lo, s16
	s_ashr_i32 s29, s28, 31
	s_mov_b32 s3, exec_lo
	s_lshl_b64 s[0:1], s[28:29], 2
	s_add_u32 s0, s24, s0
	s_addc_u32 s1, s25, s1
	s_load_dwordx2 s[0:1], s[0:1], 0x0
	s_waitcnt lgkmcnt(0)
	s_sub_i32 s2, s1, s0
	v_cmpx_gt_i32_e64 s2, v0
	s_cbranch_execz .LBB15_77
; %bb.68:
	s_sub_i32 s3, s0, s18
	s_sub_i32 s0, s0, s1
	s_and_b32 s1, s2, 7
	s_cmp_lt_u32 s0, -7
	s_mov_b32 s7, 0
	s_cselect_b32 s4, -1, 0
	s_and_b32 s5, s2, -8
	s_cmp_lg_u32 s1, 0
	s_cselect_b32 s6, -1, 0
	s_branch .LBB15_70
.LBB15_69:                              ;   in Loop: Header=BB15_70 Depth=1
	v_ashrrev_i32_e32 v2, 31, v1
	v_add_nc_u32_e32 v0, 0x400, v0
	s_waitcnt lgkmcnt(0)
	v_add_nc_u32_e32 v3, s18, v3
	v_lshlrev_b64 v[1:2], 2, v[1:2]
	v_cmp_le_i32_e32 vcc_lo, s2, v0
	s_or_b32 s7, vcc_lo, s7
	v_add_co_u32 v1, s0, s26, v1
	v_add_co_ci_u32_e64 v2, null, s27, v2, s0
	global_store_dword v[1:2], v3, off
	s_andn2_b32 exec_lo, exec_lo, s7
	s_cbranch_execz .LBB15_77
.LBB15_70:                              ; =>This Loop Header: Depth=1
                                        ;     Child Loop BB15_72 Depth 2
                                        ;     Child Loop BB15_76 Depth 2
	v_lshl_add_u32 v1, v0, 2, 0
	s_andn2_b32 vcc_lo, exec_lo, s4
	s_mov_b32 s0, 0
	ds_read_b32 v3, v1
	v_mov_b32_e32 v1, s3
	s_cbranch_vccnz .LBB15_74
; %bb.71:                               ;   in Loop: Header=BB15_70 Depth=1
	v_mov_b32_e32 v1, s3
	s_mov_b32 s8, 0
	s_inst_prefetch 0x1
	.p2align	6
.LBB15_72:                              ;   Parent Loop BB15_70 Depth=1
                                        ; =>  This Inner Loop Header: Depth=2
	v_mov_b32_e32 v2, s8
	s_add_i32 s0, s0, 8
	s_add_i32 s8, s8, 32
	s_cmp_eq_u32 s5, s0
	ds_read2_b32 v[4:5], v2 offset1:1
	ds_read2_b32 v[6:7], v2 offset0:2 offset1:3
	ds_read2_b32 v[8:9], v2 offset0:4 offset1:5
	;; [unrolled: 1-line block ×3, first 2 shown]
	s_waitcnt lgkmcnt(3)
	v_cmp_gt_i32_e32 vcc_lo, v3, v4
	v_cndmask_b32_e64 v2, 0, 1, vcc_lo
	s_waitcnt lgkmcnt(2)
	v_cmp_gt_i32_e32 vcc_lo, v3, v6
	v_cndmask_b32_e64 v4, 0, 1, vcc_lo
	v_cmp_gt_i32_e32 vcc_lo, v3, v5
	v_add_co_ci_u32_e64 v1, null, v1, v2, vcc_lo
	s_waitcnt lgkmcnt(1)
	v_cmp_gt_i32_e32 vcc_lo, v3, v8
	v_cndmask_b32_e64 v2, 0, 1, vcc_lo
	v_cmp_gt_i32_e32 vcc_lo, v3, v7
	v_add_co_ci_u32_e64 v1, null, v1, v4, vcc_lo
	;; [unrolled: 5-line block ×3, first 2 shown]
	v_cmp_gt_i32_e32 vcc_lo, v3, v11
	v_add_co_ci_u32_e64 v1, null, v1, v4, vcc_lo
	s_cbranch_scc0 .LBB15_72
; %bb.73:                               ;   in Loop: Header=BB15_70 Depth=1
	s_inst_prefetch 0x2
	s_mov_b32 s0, s5
.LBB15_74:                              ;   in Loop: Header=BB15_70 Depth=1
	s_andn2_b32 vcc_lo, exec_lo, s6
	s_cbranch_vccnz .LBB15_69
; %bb.75:                               ;   in Loop: Header=BB15_70 Depth=1
	s_lshl_b32 s0, s0, 2
	s_mov_b32 s8, s1
	s_add_i32 s0, s0, 0
.LBB15_76:                              ;   Parent Loop BB15_70 Depth=1
                                        ; =>  This Inner Loop Header: Depth=2
	v_mov_b32_e32 v2, s0
	s_add_i32 s8, s8, -1
	s_add_i32 s0, s0, 4
	s_cmp_lg_u32 s8, 0
	ds_read_b32 v2, v2
	s_waitcnt lgkmcnt(0)
	v_cmp_gt_i32_e32 vcc_lo, v3, v2
	v_add_co_ci_u32_e64 v1, null, 0, v1, vcc_lo
	s_cbranch_scc1 .LBB15_76
	s_branch .LBB15_69
.LBB15_77:
	s_endpgm
	.section	.rodata,"a",@progbits
	.p2align	6, 0x0
	.amdhsa_kernel _ZN9rocsparseL35csrgemm_symbolic_fill_block_per_rowILj1024ELj64ELj4096ELj137ELj64EiiEEvT5_PKS1_S3_PKT4_S3_S6_S3_S6_S3_S6_PS1_21rocsparse_index_base_S8_S8_S8_bb
		.amdhsa_group_segment_fixed_size 0
		.amdhsa_private_segment_fixed_size 0
		.amdhsa_kernarg_size 108
		.amdhsa_user_sgpr_count 6
		.amdhsa_user_sgpr_private_segment_buffer 1
		.amdhsa_user_sgpr_dispatch_ptr 0
		.amdhsa_user_sgpr_queue_ptr 0
		.amdhsa_user_sgpr_kernarg_segment_ptr 1
		.amdhsa_user_sgpr_dispatch_id 0
		.amdhsa_user_sgpr_flat_scratch_init 0
		.amdhsa_user_sgpr_private_segment_size 0
		.amdhsa_wavefront_size32 1
		.amdhsa_uses_dynamic_stack 0
		.amdhsa_system_sgpr_private_segment_wavefront_offset 0
		.amdhsa_system_sgpr_workgroup_id_x 1
		.amdhsa_system_sgpr_workgroup_id_y 0
		.amdhsa_system_sgpr_workgroup_id_z 0
		.amdhsa_system_sgpr_workgroup_info 0
		.amdhsa_system_vgpr_workitem_id 0
		.amdhsa_next_free_vgpr 12
		.amdhsa_next_free_sgpr 31
		.amdhsa_reserve_vcc 1
		.amdhsa_reserve_flat_scratch 0
		.amdhsa_float_round_mode_32 0
		.amdhsa_float_round_mode_16_64 0
		.amdhsa_float_denorm_mode_32 3
		.amdhsa_float_denorm_mode_16_64 3
		.amdhsa_dx10_clamp 1
		.amdhsa_ieee_mode 1
		.amdhsa_fp16_overflow 0
		.amdhsa_workgroup_processor_mode 1
		.amdhsa_memory_ordered 1
		.amdhsa_forward_progress 1
		.amdhsa_shared_vgpr_count 0
		.amdhsa_exception_fp_ieee_invalid_op 0
		.amdhsa_exception_fp_denorm_src 0
		.amdhsa_exception_fp_ieee_div_zero 0
		.amdhsa_exception_fp_ieee_overflow 0
		.amdhsa_exception_fp_ieee_underflow 0
		.amdhsa_exception_fp_ieee_inexact 0
		.amdhsa_exception_int_div_zero 0
	.end_amdhsa_kernel
	.section	.text._ZN9rocsparseL35csrgemm_symbolic_fill_block_per_rowILj1024ELj64ELj4096ELj137ELj64EiiEEvT5_PKS1_S3_PKT4_S3_S6_S3_S6_S3_S6_PS1_21rocsparse_index_base_S8_S8_S8_bb,"axG",@progbits,_ZN9rocsparseL35csrgemm_symbolic_fill_block_per_rowILj1024ELj64ELj4096ELj137ELj64EiiEEvT5_PKS1_S3_PKT4_S3_S6_S3_S6_S3_S6_PS1_21rocsparse_index_base_S8_S8_S8_bb,comdat
.Lfunc_end15:
	.size	_ZN9rocsparseL35csrgemm_symbolic_fill_block_per_rowILj1024ELj64ELj4096ELj137ELj64EiiEEvT5_PKS1_S3_PKT4_S3_S6_S3_S6_S3_S6_PS1_21rocsparse_index_base_S8_S8_S8_bb, .Lfunc_end15-_ZN9rocsparseL35csrgemm_symbolic_fill_block_per_rowILj1024ELj64ELj4096ELj137ELj64EiiEEvT5_PKS1_S3_PKT4_S3_S6_S3_S6_S3_S6_PS1_21rocsparse_index_base_S8_S8_S8_bb
                                        ; -- End function
	.set _ZN9rocsparseL35csrgemm_symbolic_fill_block_per_rowILj1024ELj64ELj4096ELj137ELj64EiiEEvT5_PKS1_S3_PKT4_S3_S6_S3_S6_S3_S6_PS1_21rocsparse_index_base_S8_S8_S8_bb.num_vgpr, 12
	.set _ZN9rocsparseL35csrgemm_symbolic_fill_block_per_rowILj1024ELj64ELj4096ELj137ELj64EiiEEvT5_PKS1_S3_PKT4_S3_S6_S3_S6_S3_S6_PS1_21rocsparse_index_base_S8_S8_S8_bb.num_agpr, 0
	.set _ZN9rocsparseL35csrgemm_symbolic_fill_block_per_rowILj1024ELj64ELj4096ELj137ELj64EiiEEvT5_PKS1_S3_PKT4_S3_S6_S3_S6_S3_S6_PS1_21rocsparse_index_base_S8_S8_S8_bb.numbered_sgpr, 31
	.set _ZN9rocsparseL35csrgemm_symbolic_fill_block_per_rowILj1024ELj64ELj4096ELj137ELj64EiiEEvT5_PKS1_S3_PKT4_S3_S6_S3_S6_S3_S6_PS1_21rocsparse_index_base_S8_S8_S8_bb.num_named_barrier, 0
	.set _ZN9rocsparseL35csrgemm_symbolic_fill_block_per_rowILj1024ELj64ELj4096ELj137ELj64EiiEEvT5_PKS1_S3_PKT4_S3_S6_S3_S6_S3_S6_PS1_21rocsparse_index_base_S8_S8_S8_bb.private_seg_size, 0
	.set _ZN9rocsparseL35csrgemm_symbolic_fill_block_per_rowILj1024ELj64ELj4096ELj137ELj64EiiEEvT5_PKS1_S3_PKT4_S3_S6_S3_S6_S3_S6_PS1_21rocsparse_index_base_S8_S8_S8_bb.uses_vcc, 1
	.set _ZN9rocsparseL35csrgemm_symbolic_fill_block_per_rowILj1024ELj64ELj4096ELj137ELj64EiiEEvT5_PKS1_S3_PKT4_S3_S6_S3_S6_S3_S6_PS1_21rocsparse_index_base_S8_S8_S8_bb.uses_flat_scratch, 0
	.set _ZN9rocsparseL35csrgemm_symbolic_fill_block_per_rowILj1024ELj64ELj4096ELj137ELj64EiiEEvT5_PKS1_S3_PKT4_S3_S6_S3_S6_S3_S6_PS1_21rocsparse_index_base_S8_S8_S8_bb.has_dyn_sized_stack, 0
	.set _ZN9rocsparseL35csrgemm_symbolic_fill_block_per_rowILj1024ELj64ELj4096ELj137ELj64EiiEEvT5_PKS1_S3_PKT4_S3_S6_S3_S6_S3_S6_PS1_21rocsparse_index_base_S8_S8_S8_bb.has_recursion, 0
	.set _ZN9rocsparseL35csrgemm_symbolic_fill_block_per_rowILj1024ELj64ELj4096ELj137ELj64EiiEEvT5_PKS1_S3_PKT4_S3_S6_S3_S6_S3_S6_PS1_21rocsparse_index_base_S8_S8_S8_bb.has_indirect_call, 0
	.section	.AMDGPU.csdata,"",@progbits
; Kernel info:
; codeLenInByte = 2676
; TotalNumSgprs: 33
; NumVgprs: 12
; ScratchSize: 0
; MemoryBound: 0
; FloatMode: 240
; IeeeMode: 1
; LDSByteSize: 0 bytes/workgroup (compile time only)
; SGPRBlocks: 0
; VGPRBlocks: 1
; NumSGPRsForWavesPerEU: 33
; NumVGPRsForWavesPerEU: 12
; Occupancy: 16
; WaveLimiterHint : 1
; COMPUTE_PGM_RSRC2:SCRATCH_EN: 0
; COMPUTE_PGM_RSRC2:USER_SGPR: 6
; COMPUTE_PGM_RSRC2:TRAP_HANDLER: 0
; COMPUTE_PGM_RSRC2:TGID_X_EN: 1
; COMPUTE_PGM_RSRC2:TGID_Y_EN: 0
; COMPUTE_PGM_RSRC2:TGID_Z_EN: 0
; COMPUTE_PGM_RSRC2:TIDIG_COMP_CNT: 0
	.section	.text._ZN9rocsparseL35csrgemm_symbolic_fill_block_per_rowILj1024ELj64ELj8192ELj137ELj32EiiEEvT5_PKS1_S3_PKT4_S3_S6_S3_S6_S3_S6_PS1_21rocsparse_index_base_S8_S8_S8_bb,"axG",@progbits,_ZN9rocsparseL35csrgemm_symbolic_fill_block_per_rowILj1024ELj64ELj8192ELj137ELj32EiiEEvT5_PKS1_S3_PKT4_S3_S6_S3_S6_S3_S6_PS1_21rocsparse_index_base_S8_S8_S8_bb,comdat
	.globl	_ZN9rocsparseL35csrgemm_symbolic_fill_block_per_rowILj1024ELj64ELj8192ELj137ELj32EiiEEvT5_PKS1_S3_PKT4_S3_S6_S3_S6_S3_S6_PS1_21rocsparse_index_base_S8_S8_S8_bb ; -- Begin function _ZN9rocsparseL35csrgemm_symbolic_fill_block_per_rowILj1024ELj64ELj8192ELj137ELj32EiiEEvT5_PKS1_S3_PKT4_S3_S6_S3_S6_S3_S6_PS1_21rocsparse_index_base_S8_S8_S8_bb
	.p2align	8
	.type	_ZN9rocsparseL35csrgemm_symbolic_fill_block_per_rowILj1024ELj64ELj8192ELj137ELj32EiiEEvT5_PKS1_S3_PKT4_S3_S6_S3_S6_S3_S6_PS1_21rocsparse_index_base_S8_S8_S8_bb,@function
_ZN9rocsparseL35csrgemm_symbolic_fill_block_per_rowILj1024ELj64ELj8192ELj137ELj32EiiEEvT5_PKS1_S3_PKT4_S3_S6_S3_S6_S3_S6_PS1_21rocsparse_index_base_S8_S8_S8_bb: ; @_ZN9rocsparseL35csrgemm_symbolic_fill_block_per_rowILj1024ELj64ELj8192ELj137ELj32EiiEEvT5_PKS1_S3_PKT4_S3_S6_S3_S6_S3_S6_PS1_21rocsparse_index_base_S8_S8_S8_bb
; %bb.0:
	s_clause 0x1
	s_load_dword s33, s[4:5], 0x0
	s_load_dwordx4 s[0:3], s[4:5], 0x8
	v_lshl_add_u32 v4, v0, 2, 0
	s_load_dword s8, s[4:5], 0x68
	s_waitcnt lgkmcnt(0)
	v_mov_b32_e32 v1, s33
	v_mov_b32_e32 v2, s33
	;; [unrolled: 1-line block ×8, first 2 shown]
	ds_write2st64_b32 v4, v1, v2 offset1:16
	ds_write2st64_b32 v4, v3, v5 offset0:32 offset1:48
	ds_write2st64_b32 v4, v6, v7 offset0:64 offset1:80
	;; [unrolled: 1-line block ×3, first 2 shown]
	s_waitcnt lgkmcnt(0)
	s_barrier
	buffer_gl0_inv
	s_load_dword s0, s[0:1], 0x0
	s_mov_b32 s1, 0
	s_waitcnt lgkmcnt(0)
	s_add_i32 s0, s0, s6
	s_lshl_b64 s[0:1], s[0:1], 2
	s_add_u32 s0, s2, s0
	s_addc_u32 s1, s3, s1
	s_load_dwordx4 s[36:39], s[4:5], 0x58
	s_load_dword s34, s[0:1], 0x0
	s_bitcmp0_b32 s8, 0
	s_cbranch_scc1 .LBB16_16
; %bb.1:
	s_load_dwordx2 s[0:1], s[4:5], 0x18
	s_waitcnt lgkmcnt(0)
	s_ashr_i32 s35, s34, 31
	v_lshrrev_b32_e32 v1, 6, v0
	s_lshl_b64 s[2:3], s[34:35], 2
	s_mov_b32 s10, exec_lo
	v_subrev_nc_u32_e32 v1, s36, v1
	s_add_u32 s0, s0, s2
	s_addc_u32 s1, s1, s3
	s_load_dwordx2 s[0:1], s[0:1], 0x0
	s_waitcnt lgkmcnt(0)
	v_add_nc_u32_e32 v1, s0, v1
	s_sub_i32 s9, s1, s36
	v_cmpx_gt_i32_e64 s9, v1
	s_cbranch_execz .LBB16_15
; %bb.2:
	s_clause 0x1
	s_load_dwordx4 s[0:3], s[4:5], 0x20
	s_load_dwordx2 s[6:7], s[4:5], 0x30
	v_and_b32_e32 v2, 63, v0
	s_mov_b32 s11, 0
	v_subrev_nc_u32_e32 v5, s37, v2
	s_branch .LBB16_4
.LBB16_3:                               ;   in Loop: Header=BB16_4 Depth=1
	s_or_b32 exec_lo, exec_lo, s12
	v_add_nc_u32_e32 v1, 16, v1
	v_cmp_le_i32_e32 vcc_lo, s9, v1
	s_or_b32 s11, vcc_lo, s11
	s_andn2_b32 exec_lo, exec_lo, s11
	s_cbranch_execz .LBB16_15
.LBB16_4:                               ; =>This Loop Header: Depth=1
                                        ;     Child Loop BB16_7 Depth 2
                                        ;       Child Loop BB16_10 Depth 3
	v_ashrrev_i32_e32 v2, 31, v1
	s_mov_b32 s12, exec_lo
	v_lshlrev_b64 v[2:3], 2, v[1:2]
	s_waitcnt lgkmcnt(0)
	v_add_co_u32 v2, vcc_lo, s0, v2
	v_add_co_ci_u32_e64 v3, null, s1, v3, vcc_lo
	global_load_dword v2, v[2:3], off
	s_waitcnt vmcnt(0)
	v_subrev_nc_u32_e32 v2, s36, v2
	v_ashrrev_i32_e32 v3, 31, v2
	v_lshlrev_b64 v[2:3], 2, v[2:3]
	v_add_co_u32 v2, vcc_lo, s2, v2
	v_add_co_ci_u32_e64 v3, null, s3, v3, vcc_lo
	global_load_dwordx2 v[2:3], v[2:3], off
	s_waitcnt vmcnt(0)
	v_subrev_nc_u32_e32 v6, s37, v3
	v_add_nc_u32_e32 v2, v2, v5
	v_cmpx_lt_i32_e64 v2, v6
	s_cbranch_execz .LBB16_3
; %bb.5:                                ;   in Loop: Header=BB16_4 Depth=1
	s_mov_b32 s13, 0
	s_branch .LBB16_7
.LBB16_6:                               ;   in Loop: Header=BB16_7 Depth=2
	s_inst_prefetch 0x2
	s_or_b32 exec_lo, exec_lo, s14
	v_add_nc_u32_e32 v2, 64, v2
	v_cmp_ge_i32_e32 vcc_lo, v2, v6
	s_or_b32 s13, vcc_lo, s13
	s_andn2_b32 exec_lo, exec_lo, s13
	s_cbranch_execz .LBB16_3
.LBB16_7:                               ;   Parent Loop BB16_4 Depth=1
                                        ; =>  This Loop Header: Depth=2
                                        ;       Child Loop BB16_10 Depth 3
	v_ashrrev_i32_e32 v3, 31, v2
	s_mov_b32 s14, 0
                                        ; implicit-def: $sgpr15
	v_lshlrev_b64 v[7:8], 2, v[2:3]
	v_add_co_u32 v7, vcc_lo, s6, v7
	v_add_co_ci_u32_e64 v8, null, s7, v8, vcc_lo
	global_load_dword v3, v[7:8], off
	s_waitcnt vmcnt(0)
	v_subrev_nc_u32_e32 v3, s37, v3
	v_mul_lo_u32 v7, 0x89, v3
	v_and_b32_e32 v7, 0x1fff, v7
	s_inst_prefetch 0x1
	s_branch .LBB16_10
	.p2align	6
.LBB16_8:                               ;   in Loop: Header=BB16_10 Depth=3
	s_or_b32 exec_lo, exec_lo, s17
	s_andn2_b32 s15, s15, exec_lo
	s_and_b32 s17, s18, exec_lo
	s_or_b32 s15, s15, s17
.LBB16_9:                               ;   in Loop: Header=BB16_10 Depth=3
	s_or_b32 exec_lo, exec_lo, s16
	s_xor_b32 s16, s15, -1
	s_and_b32 s16, exec_lo, s16
	s_or_b32 s14, s16, s14
	s_andn2_b32 exec_lo, exec_lo, s14
	s_cbranch_execz .LBB16_6
.LBB16_10:                              ;   Parent Loop BB16_4 Depth=1
                                        ;     Parent Loop BB16_7 Depth=2
                                        ; =>    This Inner Loop Header: Depth=3
	v_lshl_add_u32 v8, v7, 2, 0
	s_andn2_b32 s15, s15, exec_lo
	s_mov_b32 s16, exec_lo
	ds_read_b32 v9, v8
	s_waitcnt lgkmcnt(0)
	v_cmpx_ne_u32_e64 v9, v3
	s_cbranch_execz .LBB16_9
; %bb.11:                               ;   in Loop: Header=BB16_10 Depth=3
	s_mov_b32 s17, exec_lo
	v_cmpx_ne_u32_e64 s33, v9
	s_xor_b32 s17, exec_lo, s17
; %bb.12:                               ;   in Loop: Header=BB16_10 Depth=3
	v_add_nc_u32_e32 v7, 1, v7
                                        ; implicit-def: $vgpr8
	v_and_b32_e32 v7, 0x1fff, v7
; %bb.13:                               ;   in Loop: Header=BB16_10 Depth=3
	s_or_saveexec_b32 s17, s17
	s_mov_b32 s18, -1
	s_xor_b32 exec_lo, exec_lo, s17
	s_cbranch_execz .LBB16_8
; %bb.14:                               ;   in Loop: Header=BB16_10 Depth=3
	v_mov_b32_e32 v9, s33
	ds_cmpst_rtn_b32 v8, v8, v9, v3
	s_waitcnt lgkmcnt(0)
	v_cmp_ne_u32_e32 vcc_lo, s33, v8
	s_orn2_b32 s18, vcc_lo, exec_lo
	s_branch .LBB16_8
.LBB16_15:
	s_or_b32 exec_lo, exec_lo, s10
.LBB16_16:
	s_load_dwordx4 s[40:43], s[4:5], 0x48
	s_bfe_u32 s0, s8, 0x10008
	s_cmp_eq_u32 s0, 0
	s_cbranch_scc1 .LBB16_29
; %bb.17:
	s_load_dwordx2 s[0:1], s[4:5], 0x38
	s_waitcnt lgkmcnt(0)
	s_ashr_i32 s35, s34, 31
	v_subrev_nc_u32_e32 v1, s39, v0
	s_lshl_b64 s[2:3], s[34:35], 2
	s_add_u32 s0, s0, s2
	s_addc_u32 s1, s1, s3
	s_mov_b32 s3, exec_lo
	s_load_dwordx2 s[0:1], s[0:1], 0x0
	s_waitcnt lgkmcnt(0)
	v_add_nc_u32_e32 v1, s0, v1
	s_sub_i32 s2, s1, s39
	v_cmpx_gt_i32_e64 s2, v1
	s_cbranch_execz .LBB16_28
; %bb.18:
	s_load_dwordx2 s[0:1], s[4:5], 0x40
	s_mov_b32 s4, 0
	s_branch .LBB16_20
.LBB16_19:                              ;   in Loop: Header=BB16_20 Depth=1
	s_inst_prefetch 0x2
	s_or_b32 exec_lo, exec_lo, s5
	v_add_nc_u32_e32 v1, 0x400, v1
	v_cmp_le_i32_e32 vcc_lo, s2, v1
	s_or_b32 s4, vcc_lo, s4
	s_andn2_b32 exec_lo, exec_lo, s4
	s_cbranch_execz .LBB16_28
.LBB16_20:                              ; =>This Loop Header: Depth=1
                                        ;     Child Loop BB16_23 Depth 2
	v_ashrrev_i32_e32 v2, 31, v1
	s_mov_b32 s5, 0
                                        ; implicit-def: $sgpr6
	v_lshlrev_b64 v[2:3], 2, v[1:2]
	s_waitcnt lgkmcnt(0)
	v_add_co_u32 v2, vcc_lo, s0, v2
	v_add_co_ci_u32_e64 v3, null, s1, v3, vcc_lo
	global_load_dword v2, v[2:3], off
	s_waitcnt vmcnt(0)
	v_subrev_nc_u32_e32 v2, s39, v2
	v_mul_lo_u32 v3, 0x89, v2
	v_and_b32_e32 v3, 0x1fff, v3
	s_inst_prefetch 0x1
	s_branch .LBB16_23
	.p2align	6
.LBB16_21:                              ;   in Loop: Header=BB16_23 Depth=2
	s_or_b32 exec_lo, exec_lo, s8
	s_andn2_b32 s6, s6, exec_lo
	s_and_b32 s8, s9, exec_lo
	s_or_b32 s6, s6, s8
.LBB16_22:                              ;   in Loop: Header=BB16_23 Depth=2
	s_or_b32 exec_lo, exec_lo, s7
	s_xor_b32 s7, s6, -1
	s_and_b32 s7, exec_lo, s7
	s_or_b32 s5, s7, s5
	s_andn2_b32 exec_lo, exec_lo, s5
	s_cbranch_execz .LBB16_19
.LBB16_23:                              ;   Parent Loop BB16_20 Depth=1
                                        ; =>  This Inner Loop Header: Depth=2
	v_lshl_add_u32 v5, v3, 2, 0
	s_andn2_b32 s6, s6, exec_lo
	s_mov_b32 s7, exec_lo
	ds_read_b32 v6, v5
	s_waitcnt lgkmcnt(0)
	v_cmpx_ne_u32_e64 v6, v2
	s_cbranch_execz .LBB16_22
; %bb.24:                               ;   in Loop: Header=BB16_23 Depth=2
	s_mov_b32 s8, exec_lo
	v_cmpx_ne_u32_e64 s33, v6
	s_xor_b32 s8, exec_lo, s8
; %bb.25:                               ;   in Loop: Header=BB16_23 Depth=2
	v_add_nc_u32_e32 v3, 1, v3
                                        ; implicit-def: $vgpr5
	v_and_b32_e32 v3, 0x1fff, v3
; %bb.26:                               ;   in Loop: Header=BB16_23 Depth=2
	s_or_saveexec_b32 s8, s8
	s_mov_b32 s9, -1
	s_xor_b32 exec_lo, exec_lo, s8
	s_cbranch_execz .LBB16_21
; %bb.27:                               ;   in Loop: Header=BB16_23 Depth=2
	v_mov_b32_e32 v6, s33
	ds_cmpst_rtn_b32 v5, v5, v6, v2
	s_waitcnt lgkmcnt(0)
	v_cmp_ne_u32_e32 vcc_lo, s33, v5
	s_orn2_b32 s9, vcc_lo, exec_lo
	s_branch .LBB16_21
.LBB16_28:
	s_or_b32 exec_lo, exec_lo, s3
.LBB16_29:
	v_mbcnt_lo_u32_b32 v2, -1, 0
	v_lshrrev_b32_e32 v3, 3, v0
	v_mov_b32_e32 v1, 0
	v_cmp_lt_u32_e64 s0, 31, v0
	v_cmp_lt_u32_e64 s1, 63, v0
	v_xor_b32_e32 v2, 31, v2
	v_and_b32_e32 v3, 0x7c, v3
	v_cmp_lt_u32_e64 s2, 0x5f, v0
	v_cmp_lt_u32_e64 s3, 0x7f, v0
	;; [unrolled: 1-line block ×3, first 2 shown]
	v_lshrrev_b32_e64 v2, v2, -1
	v_add_nc_u32_e32 v3, 0, v3
	v_cmp_lt_u32_e64 s5, 0xbf, v0
	v_cmp_lt_u32_e64 s6, 0xdf, v0
	;; [unrolled: 1-line block ×26, first 2 shown]
	v_or_b32_e32 v5, 0xfffffc00, v0
	v_mov_b32_e32 v6, 0
	s_mov_b32 s35, 0
	v_cmp_eq_u32_e32 vcc_lo, 0x3ff, v0
	s_waitcnt lgkmcnt(0)
	s_barrier
	buffer_gl0_inv
	s_branch .LBB16_31
.LBB16_30:                              ;   in Loop: Header=BB16_31 Depth=1
	s_or_b32 exec_lo, exec_lo, s31
	s_waitcnt lgkmcnt(0)
	s_barrier
	buffer_gl0_inv
	ds_read_b32 v7, v1 offset:32892
	v_add_nc_u32_e32 v5, 0x400, v5
	v_add_nc_u32_e32 v4, 0x1000, v4
	v_cmp_lt_u32_e64 s31, 0x1bff, v5
	s_or_b32 s35, s31, s35
	s_waitcnt lgkmcnt(0)
	v_add_nc_u32_e32 v6, v7, v6
	s_andn2_b32 exec_lo, exec_lo, s35
	s_cbranch_execz .LBB16_97
.LBB16_31:                              ; =>This Inner Loop Header: Depth=1
	ds_read_b32 v7, v4
	s_waitcnt lgkmcnt(0)
	s_barrier
	buffer_gl0_inv
	v_cmp_gt_i32_e64 s31, s33, v7
	v_and_b32_e32 v8, s31, v2
	s_bcnt1_i32_b32 s36, s31
	v_mov_b32_e32 v9, s36
	v_bcnt_u32_b32 v8, v8, 0
	ds_write_b32 v3, v9 offset:32768
	s_waitcnt lgkmcnt(0)
	s_barrier
	buffer_gl0_inv
	s_and_saveexec_b32 s36, s0
	s_cbranch_execnz .LBB16_64
; %bb.32:                               ;   in Loop: Header=BB16_31 Depth=1
	s_or_b32 exec_lo, exec_lo, s36
	s_and_saveexec_b32 s36, s1
	s_cbranch_execnz .LBB16_65
.LBB16_33:                              ;   in Loop: Header=BB16_31 Depth=1
	s_or_b32 exec_lo, exec_lo, s36
	s_and_saveexec_b32 s36, s2
	s_cbranch_execnz .LBB16_66
.LBB16_34:                              ;   in Loop: Header=BB16_31 Depth=1
	s_or_b32 exec_lo, exec_lo, s36
	s_and_saveexec_b32 s36, s3
	s_cbranch_execnz .LBB16_67
.LBB16_35:                              ;   in Loop: Header=BB16_31 Depth=1
	s_or_b32 exec_lo, exec_lo, s36
	s_and_saveexec_b32 s36, s4
	s_cbranch_execnz .LBB16_68
.LBB16_36:                              ;   in Loop: Header=BB16_31 Depth=1
	s_or_b32 exec_lo, exec_lo, s36
	s_and_saveexec_b32 s36, s5
	s_cbranch_execnz .LBB16_69
.LBB16_37:                              ;   in Loop: Header=BB16_31 Depth=1
	s_or_b32 exec_lo, exec_lo, s36
	s_and_saveexec_b32 s36, s6
	s_cbranch_execnz .LBB16_70
.LBB16_38:                              ;   in Loop: Header=BB16_31 Depth=1
	s_or_b32 exec_lo, exec_lo, s36
	s_and_saveexec_b32 s36, s7
	s_cbranch_execnz .LBB16_71
.LBB16_39:                              ;   in Loop: Header=BB16_31 Depth=1
	s_or_b32 exec_lo, exec_lo, s36
	s_and_saveexec_b32 s36, s8
	s_cbranch_execnz .LBB16_72
.LBB16_40:                              ;   in Loop: Header=BB16_31 Depth=1
	s_or_b32 exec_lo, exec_lo, s36
	s_and_saveexec_b32 s36, s9
	s_cbranch_execnz .LBB16_73
.LBB16_41:                              ;   in Loop: Header=BB16_31 Depth=1
	s_or_b32 exec_lo, exec_lo, s36
	s_and_saveexec_b32 s36, s10
	s_cbranch_execnz .LBB16_74
.LBB16_42:                              ;   in Loop: Header=BB16_31 Depth=1
	s_or_b32 exec_lo, exec_lo, s36
	s_and_saveexec_b32 s36, s11
	s_cbranch_execnz .LBB16_75
.LBB16_43:                              ;   in Loop: Header=BB16_31 Depth=1
	s_or_b32 exec_lo, exec_lo, s36
	s_and_saveexec_b32 s36, s12
	s_cbranch_execnz .LBB16_76
.LBB16_44:                              ;   in Loop: Header=BB16_31 Depth=1
	s_or_b32 exec_lo, exec_lo, s36
	s_and_saveexec_b32 s36, s13
	s_cbranch_execnz .LBB16_77
.LBB16_45:                              ;   in Loop: Header=BB16_31 Depth=1
	s_or_b32 exec_lo, exec_lo, s36
	s_and_saveexec_b32 s36, s14
	s_cbranch_execnz .LBB16_78
.LBB16_46:                              ;   in Loop: Header=BB16_31 Depth=1
	s_or_b32 exec_lo, exec_lo, s36
	s_and_saveexec_b32 s36, s15
	s_cbranch_execnz .LBB16_79
.LBB16_47:                              ;   in Loop: Header=BB16_31 Depth=1
	s_or_b32 exec_lo, exec_lo, s36
	s_and_saveexec_b32 s36, s16
	s_cbranch_execnz .LBB16_80
.LBB16_48:                              ;   in Loop: Header=BB16_31 Depth=1
	s_or_b32 exec_lo, exec_lo, s36
	s_and_saveexec_b32 s36, s17
	s_cbranch_execnz .LBB16_81
.LBB16_49:                              ;   in Loop: Header=BB16_31 Depth=1
	s_or_b32 exec_lo, exec_lo, s36
	s_and_saveexec_b32 s36, s18
	s_cbranch_execnz .LBB16_82
.LBB16_50:                              ;   in Loop: Header=BB16_31 Depth=1
	s_or_b32 exec_lo, exec_lo, s36
	s_and_saveexec_b32 s36, s19
	s_cbranch_execnz .LBB16_83
.LBB16_51:                              ;   in Loop: Header=BB16_31 Depth=1
	s_or_b32 exec_lo, exec_lo, s36
	s_and_saveexec_b32 s36, s20
	s_cbranch_execnz .LBB16_84
.LBB16_52:                              ;   in Loop: Header=BB16_31 Depth=1
	s_or_b32 exec_lo, exec_lo, s36
	s_and_saveexec_b32 s36, s21
	s_cbranch_execnz .LBB16_85
.LBB16_53:                              ;   in Loop: Header=BB16_31 Depth=1
	s_or_b32 exec_lo, exec_lo, s36
	s_and_saveexec_b32 s36, s22
	s_cbranch_execnz .LBB16_86
.LBB16_54:                              ;   in Loop: Header=BB16_31 Depth=1
	s_or_b32 exec_lo, exec_lo, s36
	s_and_saveexec_b32 s36, s23
	s_cbranch_execnz .LBB16_87
.LBB16_55:                              ;   in Loop: Header=BB16_31 Depth=1
	s_or_b32 exec_lo, exec_lo, s36
	s_and_saveexec_b32 s36, s24
	s_cbranch_execnz .LBB16_88
.LBB16_56:                              ;   in Loop: Header=BB16_31 Depth=1
	s_or_b32 exec_lo, exec_lo, s36
	s_and_saveexec_b32 s36, s25
	s_cbranch_execnz .LBB16_89
.LBB16_57:                              ;   in Loop: Header=BB16_31 Depth=1
	s_or_b32 exec_lo, exec_lo, s36
	s_and_saveexec_b32 s36, s26
	s_cbranch_execnz .LBB16_90
.LBB16_58:                              ;   in Loop: Header=BB16_31 Depth=1
	s_or_b32 exec_lo, exec_lo, s36
	s_and_saveexec_b32 s36, s27
	s_cbranch_execnz .LBB16_91
.LBB16_59:                              ;   in Loop: Header=BB16_31 Depth=1
	s_or_b32 exec_lo, exec_lo, s36
	s_and_saveexec_b32 s36, s28
	s_cbranch_execnz .LBB16_92
.LBB16_60:                              ;   in Loop: Header=BB16_31 Depth=1
	s_or_b32 exec_lo, exec_lo, s36
	s_and_saveexec_b32 s36, s29
	s_cbranch_execnz .LBB16_93
.LBB16_61:                              ;   in Loop: Header=BB16_31 Depth=1
	s_or_b32 exec_lo, exec_lo, s36
	s_and_saveexec_b32 s36, s30
	s_cbranch_execnz .LBB16_94
.LBB16_62:                              ;   in Loop: Header=BB16_31 Depth=1
	s_or_b32 exec_lo, exec_lo, s36
	s_and_saveexec_b32 s36, s31
	s_cbranch_execnz .LBB16_95
.LBB16_63:                              ;   in Loop: Header=BB16_31 Depth=1
	s_or_b32 exec_lo, exec_lo, s36
	s_and_saveexec_b32 s31, vcc_lo
	s_cbranch_execz .LBB16_30
	s_branch .LBB16_96
.LBB16_64:                              ;   in Loop: Header=BB16_31 Depth=1
	ds_read_b32 v9, v1 offset:32768
	s_waitcnt lgkmcnt(0)
	v_add_nc_u32_e32 v8, v9, v8
	s_or_b32 exec_lo, exec_lo, s36
	s_and_saveexec_b32 s36, s1
	s_cbranch_execz .LBB16_33
.LBB16_65:                              ;   in Loop: Header=BB16_31 Depth=1
	ds_read_b32 v9, v1 offset:32772
	s_waitcnt lgkmcnt(0)
	v_add_nc_u32_e32 v8, v9, v8
	s_or_b32 exec_lo, exec_lo, s36
	s_and_saveexec_b32 s36, s2
	s_cbranch_execz .LBB16_34
.LBB16_66:                              ;   in Loop: Header=BB16_31 Depth=1
	ds_read_b32 v9, v1 offset:32776
	s_waitcnt lgkmcnt(0)
	v_add_nc_u32_e32 v8, v9, v8
	s_or_b32 exec_lo, exec_lo, s36
	s_and_saveexec_b32 s36, s3
	s_cbranch_execz .LBB16_35
.LBB16_67:                              ;   in Loop: Header=BB16_31 Depth=1
	ds_read_b32 v9, v1 offset:32780
	s_waitcnt lgkmcnt(0)
	v_add_nc_u32_e32 v8, v9, v8
	s_or_b32 exec_lo, exec_lo, s36
	s_and_saveexec_b32 s36, s4
	s_cbranch_execz .LBB16_36
.LBB16_68:                              ;   in Loop: Header=BB16_31 Depth=1
	ds_read_b32 v9, v1 offset:32784
	s_waitcnt lgkmcnt(0)
	v_add_nc_u32_e32 v8, v9, v8
	s_or_b32 exec_lo, exec_lo, s36
	s_and_saveexec_b32 s36, s5
	s_cbranch_execz .LBB16_37
.LBB16_69:                              ;   in Loop: Header=BB16_31 Depth=1
	ds_read_b32 v9, v1 offset:32788
	s_waitcnt lgkmcnt(0)
	v_add_nc_u32_e32 v8, v9, v8
	s_or_b32 exec_lo, exec_lo, s36
	s_and_saveexec_b32 s36, s6
	s_cbranch_execz .LBB16_38
.LBB16_70:                              ;   in Loop: Header=BB16_31 Depth=1
	ds_read_b32 v9, v1 offset:32792
	s_waitcnt lgkmcnt(0)
	v_add_nc_u32_e32 v8, v9, v8
	s_or_b32 exec_lo, exec_lo, s36
	s_and_saveexec_b32 s36, s7
	s_cbranch_execz .LBB16_39
.LBB16_71:                              ;   in Loop: Header=BB16_31 Depth=1
	ds_read_b32 v9, v1 offset:32796
	s_waitcnt lgkmcnt(0)
	v_add_nc_u32_e32 v8, v9, v8
	s_or_b32 exec_lo, exec_lo, s36
	s_and_saveexec_b32 s36, s8
	s_cbranch_execz .LBB16_40
.LBB16_72:                              ;   in Loop: Header=BB16_31 Depth=1
	ds_read_b32 v9, v1 offset:32800
	s_waitcnt lgkmcnt(0)
	v_add_nc_u32_e32 v8, v9, v8
	s_or_b32 exec_lo, exec_lo, s36
	s_and_saveexec_b32 s36, s9
	s_cbranch_execz .LBB16_41
.LBB16_73:                              ;   in Loop: Header=BB16_31 Depth=1
	ds_read_b32 v9, v1 offset:32804
	s_waitcnt lgkmcnt(0)
	v_add_nc_u32_e32 v8, v9, v8
	s_or_b32 exec_lo, exec_lo, s36
	s_and_saveexec_b32 s36, s10
	s_cbranch_execz .LBB16_42
.LBB16_74:                              ;   in Loop: Header=BB16_31 Depth=1
	ds_read_b32 v9, v1 offset:32808
	s_waitcnt lgkmcnt(0)
	v_add_nc_u32_e32 v8, v9, v8
	s_or_b32 exec_lo, exec_lo, s36
	s_and_saveexec_b32 s36, s11
	s_cbranch_execz .LBB16_43
.LBB16_75:                              ;   in Loop: Header=BB16_31 Depth=1
	ds_read_b32 v9, v1 offset:32812
	s_waitcnt lgkmcnt(0)
	v_add_nc_u32_e32 v8, v9, v8
	s_or_b32 exec_lo, exec_lo, s36
	s_and_saveexec_b32 s36, s12
	s_cbranch_execz .LBB16_44
.LBB16_76:                              ;   in Loop: Header=BB16_31 Depth=1
	ds_read_b32 v9, v1 offset:32816
	s_waitcnt lgkmcnt(0)
	v_add_nc_u32_e32 v8, v9, v8
	s_or_b32 exec_lo, exec_lo, s36
	s_and_saveexec_b32 s36, s13
	s_cbranch_execz .LBB16_45
.LBB16_77:                              ;   in Loop: Header=BB16_31 Depth=1
	ds_read_b32 v9, v1 offset:32820
	s_waitcnt lgkmcnt(0)
	v_add_nc_u32_e32 v8, v9, v8
	s_or_b32 exec_lo, exec_lo, s36
	s_and_saveexec_b32 s36, s14
	s_cbranch_execz .LBB16_46
.LBB16_78:                              ;   in Loop: Header=BB16_31 Depth=1
	ds_read_b32 v9, v1 offset:32824
	s_waitcnt lgkmcnt(0)
	v_add_nc_u32_e32 v8, v9, v8
	s_or_b32 exec_lo, exec_lo, s36
	s_and_saveexec_b32 s36, s15
	s_cbranch_execz .LBB16_47
.LBB16_79:                              ;   in Loop: Header=BB16_31 Depth=1
	ds_read_b32 v9, v1 offset:32828
	s_waitcnt lgkmcnt(0)
	v_add_nc_u32_e32 v8, v9, v8
	s_or_b32 exec_lo, exec_lo, s36
	s_and_saveexec_b32 s36, s16
	s_cbranch_execz .LBB16_48
.LBB16_80:                              ;   in Loop: Header=BB16_31 Depth=1
	ds_read_b32 v9, v1 offset:32832
	s_waitcnt lgkmcnt(0)
	v_add_nc_u32_e32 v8, v9, v8
	s_or_b32 exec_lo, exec_lo, s36
	s_and_saveexec_b32 s36, s17
	s_cbranch_execz .LBB16_49
.LBB16_81:                              ;   in Loop: Header=BB16_31 Depth=1
	ds_read_b32 v9, v1 offset:32836
	s_waitcnt lgkmcnt(0)
	v_add_nc_u32_e32 v8, v9, v8
	s_or_b32 exec_lo, exec_lo, s36
	s_and_saveexec_b32 s36, s18
	s_cbranch_execz .LBB16_50
.LBB16_82:                              ;   in Loop: Header=BB16_31 Depth=1
	ds_read_b32 v9, v1 offset:32840
	s_waitcnt lgkmcnt(0)
	v_add_nc_u32_e32 v8, v9, v8
	s_or_b32 exec_lo, exec_lo, s36
	s_and_saveexec_b32 s36, s19
	s_cbranch_execz .LBB16_51
.LBB16_83:                              ;   in Loop: Header=BB16_31 Depth=1
	ds_read_b32 v9, v1 offset:32844
	s_waitcnt lgkmcnt(0)
	v_add_nc_u32_e32 v8, v9, v8
	s_or_b32 exec_lo, exec_lo, s36
	s_and_saveexec_b32 s36, s20
	s_cbranch_execz .LBB16_52
.LBB16_84:                              ;   in Loop: Header=BB16_31 Depth=1
	ds_read_b32 v9, v1 offset:32848
	s_waitcnt lgkmcnt(0)
	v_add_nc_u32_e32 v8, v9, v8
	s_or_b32 exec_lo, exec_lo, s36
	s_and_saveexec_b32 s36, s21
	s_cbranch_execz .LBB16_53
.LBB16_85:                              ;   in Loop: Header=BB16_31 Depth=1
	ds_read_b32 v9, v1 offset:32852
	s_waitcnt lgkmcnt(0)
	v_add_nc_u32_e32 v8, v9, v8
	s_or_b32 exec_lo, exec_lo, s36
	s_and_saveexec_b32 s36, s22
	s_cbranch_execz .LBB16_54
.LBB16_86:                              ;   in Loop: Header=BB16_31 Depth=1
	ds_read_b32 v9, v1 offset:32856
	s_waitcnt lgkmcnt(0)
	v_add_nc_u32_e32 v8, v9, v8
	s_or_b32 exec_lo, exec_lo, s36
	s_and_saveexec_b32 s36, s23
	s_cbranch_execz .LBB16_55
.LBB16_87:                              ;   in Loop: Header=BB16_31 Depth=1
	ds_read_b32 v9, v1 offset:32860
	s_waitcnt lgkmcnt(0)
	v_add_nc_u32_e32 v8, v9, v8
	s_or_b32 exec_lo, exec_lo, s36
	s_and_saveexec_b32 s36, s24
	s_cbranch_execz .LBB16_56
.LBB16_88:                              ;   in Loop: Header=BB16_31 Depth=1
	ds_read_b32 v9, v1 offset:32864
	s_waitcnt lgkmcnt(0)
	v_add_nc_u32_e32 v8, v9, v8
	s_or_b32 exec_lo, exec_lo, s36
	s_and_saveexec_b32 s36, s25
	s_cbranch_execz .LBB16_57
.LBB16_89:                              ;   in Loop: Header=BB16_31 Depth=1
	ds_read_b32 v9, v1 offset:32868
	s_waitcnt lgkmcnt(0)
	v_add_nc_u32_e32 v8, v9, v8
	s_or_b32 exec_lo, exec_lo, s36
	s_and_saveexec_b32 s36, s26
	s_cbranch_execz .LBB16_58
.LBB16_90:                              ;   in Loop: Header=BB16_31 Depth=1
	ds_read_b32 v9, v1 offset:32872
	s_waitcnt lgkmcnt(0)
	v_add_nc_u32_e32 v8, v9, v8
	s_or_b32 exec_lo, exec_lo, s36
	s_and_saveexec_b32 s36, s27
	s_cbranch_execz .LBB16_59
.LBB16_91:                              ;   in Loop: Header=BB16_31 Depth=1
	ds_read_b32 v9, v1 offset:32876
	s_waitcnt lgkmcnt(0)
	v_add_nc_u32_e32 v8, v9, v8
	s_or_b32 exec_lo, exec_lo, s36
	s_and_saveexec_b32 s36, s28
	s_cbranch_execz .LBB16_60
.LBB16_92:                              ;   in Loop: Header=BB16_31 Depth=1
	ds_read_b32 v9, v1 offset:32880
	s_waitcnt lgkmcnt(0)
	v_add_nc_u32_e32 v8, v9, v8
	s_or_b32 exec_lo, exec_lo, s36
	s_and_saveexec_b32 s36, s29
	s_cbranch_execz .LBB16_61
.LBB16_93:                              ;   in Loop: Header=BB16_31 Depth=1
	ds_read_b32 v9, v1 offset:32884
	s_waitcnt lgkmcnt(0)
	v_add_nc_u32_e32 v8, v9, v8
	s_or_b32 exec_lo, exec_lo, s36
	s_and_saveexec_b32 s36, s30
	s_cbranch_execz .LBB16_62
.LBB16_94:                              ;   in Loop: Header=BB16_31 Depth=1
	ds_read_b32 v9, v1 offset:32888
	s_waitcnt lgkmcnt(0)
	v_add_nc_u32_e32 v8, v9, v8
	s_or_b32 exec_lo, exec_lo, s36
	s_and_saveexec_b32 s36, s31
	s_cbranch_execz .LBB16_63
.LBB16_95:                              ;   in Loop: Header=BB16_31 Depth=1
	v_lshlrev_b32_e32 v9, 2, v6
	v_lshlrev_b32_e32 v10, 2, v8
	v_add_nc_u32_e32 v9, 0, v9
	v_add3_u32 v9, v9, v10, -4
	ds_write_b32 v9, v7
	s_or_b32 exec_lo, exec_lo, s36
	s_and_saveexec_b32 s31, vcc_lo
	s_cbranch_execz .LBB16_30
.LBB16_96:                              ;   in Loop: Header=BB16_31 Depth=1
	ds_write_b32 v1, v8 offset:32892
	s_branch .LBB16_30
.LBB16_97:
	s_or_b32 exec_lo, exec_lo, s35
	s_ashr_i32 s35, s34, 31
	s_mov_b32 s3, exec_lo
	s_lshl_b64 s[0:1], s[34:35], 2
	s_add_u32 s0, s40, s0
	s_addc_u32 s1, s41, s1
	s_load_dwordx2 s[0:1], s[0:1], 0x0
	s_waitcnt lgkmcnt(0)
	s_sub_i32 s2, s1, s0
	v_cmpx_gt_i32_e64 s2, v0
	s_cbranch_execz .LBB16_107
; %bb.98:
	s_sub_i32 s3, s0, s38
	s_sub_i32 s0, s0, s1
	s_and_b32 s1, s2, 7
	s_cmp_lt_u32 s0, -7
	s_mov_b32 s7, 0
	s_cselect_b32 s4, -1, 0
	s_and_b32 s5, s2, -8
	s_cmp_lg_u32 s1, 0
	s_cselect_b32 s6, -1, 0
	s_branch .LBB16_100
.LBB16_99:                              ;   in Loop: Header=BB16_100 Depth=1
	v_ashrrev_i32_e32 v2, 31, v1
	v_add_nc_u32_e32 v0, 0x400, v0
	s_waitcnt lgkmcnt(0)
	v_add_nc_u32_e32 v3, s38, v3
	v_lshlrev_b64 v[1:2], 2, v[1:2]
	v_cmp_le_i32_e32 vcc_lo, s2, v0
	s_or_b32 s7, vcc_lo, s7
	v_add_co_u32 v1, s0, s42, v1
	v_add_co_ci_u32_e64 v2, null, s43, v2, s0
	global_store_dword v[1:2], v3, off
	s_andn2_b32 exec_lo, exec_lo, s7
	s_cbranch_execz .LBB16_107
.LBB16_100:                             ; =>This Loop Header: Depth=1
                                        ;     Child Loop BB16_102 Depth 2
                                        ;     Child Loop BB16_106 Depth 2
	v_lshl_add_u32 v1, v0, 2, 0
	s_andn2_b32 vcc_lo, exec_lo, s4
	s_mov_b32 s0, 0
	ds_read_b32 v3, v1
	v_mov_b32_e32 v1, s3
	s_cbranch_vccnz .LBB16_104
; %bb.101:                              ;   in Loop: Header=BB16_100 Depth=1
	v_mov_b32_e32 v1, s3
	s_mov_b32 s8, 0
	s_inst_prefetch 0x1
	.p2align	6
.LBB16_102:                             ;   Parent Loop BB16_100 Depth=1
                                        ; =>  This Inner Loop Header: Depth=2
	v_mov_b32_e32 v2, s8
	s_add_i32 s0, s0, 8
	s_add_i32 s8, s8, 32
	s_cmp_eq_u32 s5, s0
	ds_read2_b32 v[4:5], v2 offset1:1
	ds_read2_b32 v[6:7], v2 offset0:2 offset1:3
	ds_read2_b32 v[8:9], v2 offset0:4 offset1:5
	;; [unrolled: 1-line block ×3, first 2 shown]
	s_waitcnt lgkmcnt(3)
	v_cmp_gt_i32_e32 vcc_lo, v3, v4
	v_cndmask_b32_e64 v2, 0, 1, vcc_lo
	s_waitcnt lgkmcnt(2)
	v_cmp_gt_i32_e32 vcc_lo, v3, v6
	v_cndmask_b32_e64 v4, 0, 1, vcc_lo
	v_cmp_gt_i32_e32 vcc_lo, v3, v5
	v_add_co_ci_u32_e64 v1, null, v1, v2, vcc_lo
	s_waitcnt lgkmcnt(1)
	v_cmp_gt_i32_e32 vcc_lo, v3, v8
	v_cndmask_b32_e64 v2, 0, 1, vcc_lo
	v_cmp_gt_i32_e32 vcc_lo, v3, v7
	v_add_co_ci_u32_e64 v1, null, v1, v4, vcc_lo
	s_waitcnt lgkmcnt(0)
	v_cmp_gt_i32_e32 vcc_lo, v3, v10
	v_cndmask_b32_e64 v4, 0, 1, vcc_lo
	v_cmp_gt_i32_e32 vcc_lo, v3, v9
	v_add_co_ci_u32_e64 v1, null, v1, v2, vcc_lo
	v_cmp_gt_i32_e32 vcc_lo, v3, v11
	v_add_co_ci_u32_e64 v1, null, v1, v4, vcc_lo
	s_cbranch_scc0 .LBB16_102
; %bb.103:                              ;   in Loop: Header=BB16_100 Depth=1
	s_inst_prefetch 0x2
	s_mov_b32 s0, s5
.LBB16_104:                             ;   in Loop: Header=BB16_100 Depth=1
	s_andn2_b32 vcc_lo, exec_lo, s6
	s_cbranch_vccnz .LBB16_99
; %bb.105:                              ;   in Loop: Header=BB16_100 Depth=1
	s_lshl_b32 s0, s0, 2
	s_mov_b32 s8, s1
	s_add_i32 s0, s0, 0
.LBB16_106:                             ;   Parent Loop BB16_100 Depth=1
                                        ; =>  This Inner Loop Header: Depth=2
	v_mov_b32_e32 v2, s0
	s_add_i32 s8, s8, -1
	s_add_i32 s0, s0, 4
	s_cmp_lg_u32 s8, 0
	ds_read_b32 v2, v2
	s_waitcnt lgkmcnt(0)
	v_cmp_gt_i32_e32 vcc_lo, v3, v2
	v_add_co_ci_u32_e64 v1, null, 0, v1, vcc_lo
	s_cbranch_scc1 .LBB16_106
	s_branch .LBB16_99
.LBB16_107:
	s_endpgm
	.section	.rodata,"a",@progbits
	.p2align	6, 0x0
	.amdhsa_kernel _ZN9rocsparseL35csrgemm_symbolic_fill_block_per_rowILj1024ELj64ELj8192ELj137ELj32EiiEEvT5_PKS1_S3_PKT4_S3_S6_S3_S6_S3_S6_PS1_21rocsparse_index_base_S8_S8_S8_bb
		.amdhsa_group_segment_fixed_size 0
		.amdhsa_private_segment_fixed_size 0
		.amdhsa_kernarg_size 108
		.amdhsa_user_sgpr_count 6
		.amdhsa_user_sgpr_private_segment_buffer 1
		.amdhsa_user_sgpr_dispatch_ptr 0
		.amdhsa_user_sgpr_queue_ptr 0
		.amdhsa_user_sgpr_kernarg_segment_ptr 1
		.amdhsa_user_sgpr_dispatch_id 0
		.amdhsa_user_sgpr_flat_scratch_init 0
		.amdhsa_user_sgpr_private_segment_size 0
		.amdhsa_wavefront_size32 1
		.amdhsa_uses_dynamic_stack 0
		.amdhsa_system_sgpr_private_segment_wavefront_offset 0
		.amdhsa_system_sgpr_workgroup_id_x 1
		.amdhsa_system_sgpr_workgroup_id_y 0
		.amdhsa_system_sgpr_workgroup_id_z 0
		.amdhsa_system_sgpr_workgroup_info 0
		.amdhsa_system_vgpr_workitem_id 0
		.amdhsa_next_free_vgpr 12
		.amdhsa_next_free_sgpr 44
		.amdhsa_reserve_vcc 1
		.amdhsa_reserve_flat_scratch 0
		.amdhsa_float_round_mode_32 0
		.amdhsa_float_round_mode_16_64 0
		.amdhsa_float_denorm_mode_32 3
		.amdhsa_float_denorm_mode_16_64 3
		.amdhsa_dx10_clamp 1
		.amdhsa_ieee_mode 1
		.amdhsa_fp16_overflow 0
		.amdhsa_workgroup_processor_mode 1
		.amdhsa_memory_ordered 1
		.amdhsa_forward_progress 1
		.amdhsa_shared_vgpr_count 0
		.amdhsa_exception_fp_ieee_invalid_op 0
		.amdhsa_exception_fp_denorm_src 0
		.amdhsa_exception_fp_ieee_div_zero 0
		.amdhsa_exception_fp_ieee_overflow 0
		.amdhsa_exception_fp_ieee_underflow 0
		.amdhsa_exception_fp_ieee_inexact 0
		.amdhsa_exception_int_div_zero 0
	.end_amdhsa_kernel
	.section	.text._ZN9rocsparseL35csrgemm_symbolic_fill_block_per_rowILj1024ELj64ELj8192ELj137ELj32EiiEEvT5_PKS1_S3_PKT4_S3_S6_S3_S6_S3_S6_PS1_21rocsparse_index_base_S8_S8_S8_bb,"axG",@progbits,_ZN9rocsparseL35csrgemm_symbolic_fill_block_per_rowILj1024ELj64ELj8192ELj137ELj32EiiEEvT5_PKS1_S3_PKT4_S3_S6_S3_S6_S3_S6_PS1_21rocsparse_index_base_S8_S8_S8_bb,comdat
.Lfunc_end16:
	.size	_ZN9rocsparseL35csrgemm_symbolic_fill_block_per_rowILj1024ELj64ELj8192ELj137ELj32EiiEEvT5_PKS1_S3_PKT4_S3_S6_S3_S6_S3_S6_PS1_21rocsparse_index_base_S8_S8_S8_bb, .Lfunc_end16-_ZN9rocsparseL35csrgemm_symbolic_fill_block_per_rowILj1024ELj64ELj8192ELj137ELj32EiiEEvT5_PKS1_S3_PKT4_S3_S6_S3_S6_S3_S6_PS1_21rocsparse_index_base_S8_S8_S8_bb
                                        ; -- End function
	.set _ZN9rocsparseL35csrgemm_symbolic_fill_block_per_rowILj1024ELj64ELj8192ELj137ELj32EiiEEvT5_PKS1_S3_PKT4_S3_S6_S3_S6_S3_S6_PS1_21rocsparse_index_base_S8_S8_S8_bb.num_vgpr, 12
	.set _ZN9rocsparseL35csrgemm_symbolic_fill_block_per_rowILj1024ELj64ELj8192ELj137ELj32EiiEEvT5_PKS1_S3_PKT4_S3_S6_S3_S6_S3_S6_PS1_21rocsparse_index_base_S8_S8_S8_bb.num_agpr, 0
	.set _ZN9rocsparseL35csrgemm_symbolic_fill_block_per_rowILj1024ELj64ELj8192ELj137ELj32EiiEEvT5_PKS1_S3_PKT4_S3_S6_S3_S6_S3_S6_PS1_21rocsparse_index_base_S8_S8_S8_bb.numbered_sgpr, 44
	.set _ZN9rocsparseL35csrgemm_symbolic_fill_block_per_rowILj1024ELj64ELj8192ELj137ELj32EiiEEvT5_PKS1_S3_PKT4_S3_S6_S3_S6_S3_S6_PS1_21rocsparse_index_base_S8_S8_S8_bb.num_named_barrier, 0
	.set _ZN9rocsparseL35csrgemm_symbolic_fill_block_per_rowILj1024ELj64ELj8192ELj137ELj32EiiEEvT5_PKS1_S3_PKT4_S3_S6_S3_S6_S3_S6_PS1_21rocsparse_index_base_S8_S8_S8_bb.private_seg_size, 0
	.set _ZN9rocsparseL35csrgemm_symbolic_fill_block_per_rowILj1024ELj64ELj8192ELj137ELj32EiiEEvT5_PKS1_S3_PKT4_S3_S6_S3_S6_S3_S6_PS1_21rocsparse_index_base_S8_S8_S8_bb.uses_vcc, 1
	.set _ZN9rocsparseL35csrgemm_symbolic_fill_block_per_rowILj1024ELj64ELj8192ELj137ELj32EiiEEvT5_PKS1_S3_PKT4_S3_S6_S3_S6_S3_S6_PS1_21rocsparse_index_base_S8_S8_S8_bb.uses_flat_scratch, 0
	.set _ZN9rocsparseL35csrgemm_symbolic_fill_block_per_rowILj1024ELj64ELj8192ELj137ELj32EiiEEvT5_PKS1_S3_PKT4_S3_S6_S3_S6_S3_S6_PS1_21rocsparse_index_base_S8_S8_S8_bb.has_dyn_sized_stack, 0
	.set _ZN9rocsparseL35csrgemm_symbolic_fill_block_per_rowILj1024ELj64ELj8192ELj137ELj32EiiEEvT5_PKS1_S3_PKT4_S3_S6_S3_S6_S3_S6_PS1_21rocsparse_index_base_S8_S8_S8_bb.has_recursion, 0
	.set _ZN9rocsparseL35csrgemm_symbolic_fill_block_per_rowILj1024ELj64ELj8192ELj137ELj32EiiEEvT5_PKS1_S3_PKT4_S3_S6_S3_S6_S3_S6_PS1_21rocsparse_index_base_S8_S8_S8_bb.has_indirect_call, 0
	.section	.AMDGPU.csdata,"",@progbits
; Kernel info:
; codeLenInByte = 3508
; TotalNumSgprs: 46
; NumVgprs: 12
; ScratchSize: 0
; MemoryBound: 0
; FloatMode: 240
; IeeeMode: 1
; LDSByteSize: 0 bytes/workgroup (compile time only)
; SGPRBlocks: 0
; VGPRBlocks: 1
; NumSGPRsForWavesPerEU: 46
; NumVGPRsForWavesPerEU: 12
; Occupancy: 16
; WaveLimiterHint : 1
; COMPUTE_PGM_RSRC2:SCRATCH_EN: 0
; COMPUTE_PGM_RSRC2:USER_SGPR: 6
; COMPUTE_PGM_RSRC2:TRAP_HANDLER: 0
; COMPUTE_PGM_RSRC2:TGID_X_EN: 1
; COMPUTE_PGM_RSRC2:TGID_Y_EN: 0
; COMPUTE_PGM_RSRC2:TGID_Z_EN: 0
; COMPUTE_PGM_RSRC2:TIDIG_COMP_CNT: 0
	.section	.text._ZN9rocsparseL35csrgemm_symbolic_fill_block_per_rowILj1024ELj64ELj8192ELj137ELj64EiiEEvT5_PKS1_S3_PKT4_S3_S6_S3_S6_S3_S6_PS1_21rocsparse_index_base_S8_S8_S8_bb,"axG",@progbits,_ZN9rocsparseL35csrgemm_symbolic_fill_block_per_rowILj1024ELj64ELj8192ELj137ELj64EiiEEvT5_PKS1_S3_PKT4_S3_S6_S3_S6_S3_S6_PS1_21rocsparse_index_base_S8_S8_S8_bb,comdat
	.globl	_ZN9rocsparseL35csrgemm_symbolic_fill_block_per_rowILj1024ELj64ELj8192ELj137ELj64EiiEEvT5_PKS1_S3_PKT4_S3_S6_S3_S6_S3_S6_PS1_21rocsparse_index_base_S8_S8_S8_bb ; -- Begin function _ZN9rocsparseL35csrgemm_symbolic_fill_block_per_rowILj1024ELj64ELj8192ELj137ELj64EiiEEvT5_PKS1_S3_PKT4_S3_S6_S3_S6_S3_S6_PS1_21rocsparse_index_base_S8_S8_S8_bb
	.p2align	8
	.type	_ZN9rocsparseL35csrgemm_symbolic_fill_block_per_rowILj1024ELj64ELj8192ELj137ELj64EiiEEvT5_PKS1_S3_PKT4_S3_S6_S3_S6_S3_S6_PS1_21rocsparse_index_base_S8_S8_S8_bb,@function
_ZN9rocsparseL35csrgemm_symbolic_fill_block_per_rowILj1024ELj64ELj8192ELj137ELj64EiiEEvT5_PKS1_S3_PKT4_S3_S6_S3_S6_S3_S6_PS1_21rocsparse_index_base_S8_S8_S8_bb: ; @_ZN9rocsparseL35csrgemm_symbolic_fill_block_per_rowILj1024ELj64ELj8192ELj137ELj64EiiEEvT5_PKS1_S3_PKT4_S3_S6_S3_S6_S3_S6_PS1_21rocsparse_index_base_S8_S8_S8_bb
; %bb.0:
	s_clause 0x1
	s_load_dword s26, s[4:5], 0x0
	s_load_dwordx4 s[0:3], s[4:5], 0x8
	v_lshl_add_u32 v4, v0, 2, 0
	s_load_dword s8, s[4:5], 0x68
	s_waitcnt lgkmcnt(0)
	v_mov_b32_e32 v1, s26
	v_mov_b32_e32 v2, s26
	;; [unrolled: 1-line block ×8, first 2 shown]
	ds_write2st64_b32 v4, v1, v2 offset1:16
	ds_write2st64_b32 v4, v3, v5 offset0:32 offset1:48
	ds_write2st64_b32 v4, v6, v7 offset0:64 offset1:80
	;; [unrolled: 1-line block ×3, first 2 shown]
	s_waitcnt lgkmcnt(0)
	s_barrier
	buffer_gl0_inv
	s_load_dword s0, s[0:1], 0x0
	s_mov_b32 s1, 0
	v_lshrrev_b32_e32 v5, 6, v0
	s_waitcnt lgkmcnt(0)
	s_add_i32 s0, s0, s6
	s_lshl_b64 s[0:1], s[0:1], 2
	s_add_u32 s0, s2, s0
	s_addc_u32 s1, s3, s1
	s_load_dwordx4 s[16:19], s[4:5], 0x58
	s_load_dword s24, s[0:1], 0x0
	s_bitcmp0_b32 s8, 0
	s_cbranch_scc1 .LBB17_16
; %bb.1:
	s_load_dwordx2 s[0:1], s[4:5], 0x18
	s_waitcnt lgkmcnt(0)
	s_ashr_i32 s25, s24, 31
	v_subrev_nc_u32_e32 v1, s16, v5
	s_lshl_b64 s[2:3], s[24:25], 2
	s_mov_b32 s10, exec_lo
	s_add_u32 s0, s0, s2
	s_addc_u32 s1, s1, s3
	s_load_dwordx2 s[0:1], s[0:1], 0x0
	s_waitcnt lgkmcnt(0)
	v_add_nc_u32_e32 v1, s0, v1
	s_sub_i32 s9, s1, s16
	v_cmpx_gt_i32_e64 s9, v1
	s_cbranch_execz .LBB17_15
; %bb.2:
	s_clause 0x1
	s_load_dwordx4 s[0:3], s[4:5], 0x20
	s_load_dwordx2 s[6:7], s[4:5], 0x30
	v_and_b32_e32 v2, 63, v0
	s_mov_b32 s11, 0
	v_subrev_nc_u32_e32 v6, s17, v2
	s_branch .LBB17_4
.LBB17_3:                               ;   in Loop: Header=BB17_4 Depth=1
	s_or_b32 exec_lo, exec_lo, s12
	v_add_nc_u32_e32 v1, 16, v1
	v_cmp_le_i32_e32 vcc_lo, s9, v1
	s_or_b32 s11, vcc_lo, s11
	s_andn2_b32 exec_lo, exec_lo, s11
	s_cbranch_execz .LBB17_15
.LBB17_4:                               ; =>This Loop Header: Depth=1
                                        ;     Child Loop BB17_7 Depth 2
                                        ;       Child Loop BB17_10 Depth 3
	v_ashrrev_i32_e32 v2, 31, v1
	s_mov_b32 s12, exec_lo
	v_lshlrev_b64 v[2:3], 2, v[1:2]
	s_waitcnt lgkmcnt(0)
	v_add_co_u32 v2, vcc_lo, s0, v2
	v_add_co_ci_u32_e64 v3, null, s1, v3, vcc_lo
	global_load_dword v2, v[2:3], off
	s_waitcnt vmcnt(0)
	v_subrev_nc_u32_e32 v2, s16, v2
	v_ashrrev_i32_e32 v3, 31, v2
	v_lshlrev_b64 v[2:3], 2, v[2:3]
	v_add_co_u32 v2, vcc_lo, s2, v2
	v_add_co_ci_u32_e64 v3, null, s3, v3, vcc_lo
	global_load_dwordx2 v[2:3], v[2:3], off
	s_waitcnt vmcnt(0)
	v_subrev_nc_u32_e32 v7, s17, v3
	v_add_nc_u32_e32 v2, v2, v6
	v_cmpx_lt_i32_e64 v2, v7
	s_cbranch_execz .LBB17_3
; %bb.5:                                ;   in Loop: Header=BB17_4 Depth=1
	s_mov_b32 s13, 0
	s_branch .LBB17_7
.LBB17_6:                               ;   in Loop: Header=BB17_7 Depth=2
	s_inst_prefetch 0x2
	s_or_b32 exec_lo, exec_lo, s14
	v_add_nc_u32_e32 v2, 64, v2
	v_cmp_ge_i32_e32 vcc_lo, v2, v7
	s_or_b32 s13, vcc_lo, s13
	s_andn2_b32 exec_lo, exec_lo, s13
	s_cbranch_execz .LBB17_3
.LBB17_7:                               ;   Parent Loop BB17_4 Depth=1
                                        ; =>  This Loop Header: Depth=2
                                        ;       Child Loop BB17_10 Depth 3
	v_ashrrev_i32_e32 v3, 31, v2
	s_mov_b32 s14, 0
                                        ; implicit-def: $sgpr15
	v_lshlrev_b64 v[8:9], 2, v[2:3]
	v_add_co_u32 v8, vcc_lo, s6, v8
	v_add_co_ci_u32_e64 v9, null, s7, v9, vcc_lo
	global_load_dword v3, v[8:9], off
	s_waitcnt vmcnt(0)
	v_subrev_nc_u32_e32 v3, s17, v3
	v_mul_lo_u32 v8, 0x89, v3
	v_and_b32_e32 v8, 0x1fff, v8
	s_inst_prefetch 0x1
	s_branch .LBB17_10
	.p2align	6
.LBB17_8:                               ;   in Loop: Header=BB17_10 Depth=3
	s_or_b32 exec_lo, exec_lo, s21
	s_andn2_b32 s15, s15, exec_lo
	s_and_b32 s21, s22, exec_lo
	s_or_b32 s15, s15, s21
.LBB17_9:                               ;   in Loop: Header=BB17_10 Depth=3
	s_or_b32 exec_lo, exec_lo, s20
	s_xor_b32 s20, s15, -1
	s_and_b32 s20, exec_lo, s20
	s_or_b32 s14, s20, s14
	s_andn2_b32 exec_lo, exec_lo, s14
	s_cbranch_execz .LBB17_6
.LBB17_10:                              ;   Parent Loop BB17_4 Depth=1
                                        ;     Parent Loop BB17_7 Depth=2
                                        ; =>    This Inner Loop Header: Depth=3
	v_lshl_add_u32 v9, v8, 2, 0
	s_andn2_b32 s15, s15, exec_lo
	s_mov_b32 s20, exec_lo
	ds_read_b32 v10, v9
	s_waitcnt lgkmcnt(0)
	v_cmpx_ne_u32_e64 v10, v3
	s_cbranch_execz .LBB17_9
; %bb.11:                               ;   in Loop: Header=BB17_10 Depth=3
	s_mov_b32 s21, exec_lo
	v_cmpx_ne_u32_e64 s26, v10
	s_xor_b32 s21, exec_lo, s21
; %bb.12:                               ;   in Loop: Header=BB17_10 Depth=3
	v_add_nc_u32_e32 v8, 1, v8
                                        ; implicit-def: $vgpr9
	v_and_b32_e32 v8, 0x1fff, v8
; %bb.13:                               ;   in Loop: Header=BB17_10 Depth=3
	s_or_saveexec_b32 s21, s21
	s_mov_b32 s22, -1
	s_xor_b32 exec_lo, exec_lo, s21
	s_cbranch_execz .LBB17_8
; %bb.14:                               ;   in Loop: Header=BB17_10 Depth=3
	v_mov_b32_e32 v10, s26
	ds_cmpst_rtn_b32 v9, v9, v10, v3
	s_waitcnt lgkmcnt(0)
	v_cmp_ne_u32_e32 vcc_lo, s26, v9
	s_orn2_b32 s22, vcc_lo, exec_lo
	s_branch .LBB17_8
.LBB17_15:
	s_or_b32 exec_lo, exec_lo, s10
.LBB17_16:
	s_load_dwordx4 s[20:23], s[4:5], 0x48
	s_bfe_u32 s0, s8, 0x10008
	s_cmp_eq_u32 s0, 0
	s_cbranch_scc1 .LBB17_29
; %bb.17:
	s_load_dwordx2 s[0:1], s[4:5], 0x38
	s_waitcnt lgkmcnt(0)
	s_ashr_i32 s25, s24, 31
	v_subrev_nc_u32_e32 v1, s19, v0
	s_lshl_b64 s[2:3], s[24:25], 2
	s_add_u32 s0, s0, s2
	s_addc_u32 s1, s1, s3
	s_mov_b32 s3, exec_lo
	s_load_dwordx2 s[0:1], s[0:1], 0x0
	s_waitcnt lgkmcnt(0)
	v_add_nc_u32_e32 v1, s0, v1
	s_sub_i32 s2, s1, s19
	v_cmpx_gt_i32_e64 s2, v1
	s_cbranch_execz .LBB17_28
; %bb.18:
	s_load_dwordx2 s[0:1], s[4:5], 0x40
	s_mov_b32 s4, 0
	s_branch .LBB17_20
.LBB17_19:                              ;   in Loop: Header=BB17_20 Depth=1
	s_inst_prefetch 0x2
	s_or_b32 exec_lo, exec_lo, s5
	v_add_nc_u32_e32 v1, 0x400, v1
	v_cmp_le_i32_e32 vcc_lo, s2, v1
	s_or_b32 s4, vcc_lo, s4
	s_andn2_b32 exec_lo, exec_lo, s4
	s_cbranch_execz .LBB17_28
.LBB17_20:                              ; =>This Loop Header: Depth=1
                                        ;     Child Loop BB17_23 Depth 2
	v_ashrrev_i32_e32 v2, 31, v1
	s_mov_b32 s5, 0
                                        ; implicit-def: $sgpr6
	v_lshlrev_b64 v[2:3], 2, v[1:2]
	s_waitcnt lgkmcnt(0)
	v_add_co_u32 v2, vcc_lo, s0, v2
	v_add_co_ci_u32_e64 v3, null, s1, v3, vcc_lo
	global_load_dword v2, v[2:3], off
	s_waitcnt vmcnt(0)
	v_subrev_nc_u32_e32 v2, s19, v2
	v_mul_lo_u32 v3, 0x89, v2
	v_and_b32_e32 v3, 0x1fff, v3
	s_inst_prefetch 0x1
	s_branch .LBB17_23
	.p2align	6
.LBB17_21:                              ;   in Loop: Header=BB17_23 Depth=2
	s_or_b32 exec_lo, exec_lo, s8
	s_andn2_b32 s6, s6, exec_lo
	s_and_b32 s8, s9, exec_lo
	s_or_b32 s6, s6, s8
.LBB17_22:                              ;   in Loop: Header=BB17_23 Depth=2
	s_or_b32 exec_lo, exec_lo, s7
	s_xor_b32 s7, s6, -1
	s_and_b32 s7, exec_lo, s7
	s_or_b32 s5, s7, s5
	s_andn2_b32 exec_lo, exec_lo, s5
	s_cbranch_execz .LBB17_19
.LBB17_23:                              ;   Parent Loop BB17_20 Depth=1
                                        ; =>  This Inner Loop Header: Depth=2
	v_lshl_add_u32 v6, v3, 2, 0
	s_andn2_b32 s6, s6, exec_lo
	s_mov_b32 s7, exec_lo
	ds_read_b32 v7, v6
	s_waitcnt lgkmcnt(0)
	v_cmpx_ne_u32_e64 v7, v2
	s_cbranch_execz .LBB17_22
; %bb.24:                               ;   in Loop: Header=BB17_23 Depth=2
	s_mov_b32 s8, exec_lo
	v_cmpx_ne_u32_e64 s26, v7
	s_xor_b32 s8, exec_lo, s8
; %bb.25:                               ;   in Loop: Header=BB17_23 Depth=2
	v_add_nc_u32_e32 v3, 1, v3
                                        ; implicit-def: $vgpr6
	v_and_b32_e32 v3, 0x1fff, v3
; %bb.26:                               ;   in Loop: Header=BB17_23 Depth=2
	s_or_saveexec_b32 s8, s8
	s_mov_b32 s9, -1
	s_xor_b32 exec_lo, exec_lo, s8
	s_cbranch_execz .LBB17_21
; %bb.27:                               ;   in Loop: Header=BB17_23 Depth=2
	v_mov_b32_e32 v7, s26
	ds_cmpst_rtn_b32 v6, v6, v7, v2
	s_waitcnt lgkmcnt(0)
	v_cmp_ne_u32_e32 vcc_lo, s26, v6
	s_orn2_b32 s9, vcc_lo, exec_lo
	s_branch .LBB17_21
.LBB17_28:
	s_or_b32 exec_lo, exec_lo, s3
.LBB17_29:
	v_mbcnt_lo_u32_b32 v3, -1, 0
	v_mov_b32_e32 v1, 0
	v_lshl_add_u32 v2, v5, 2, 0
	v_cmp_lt_u32_e64 s0, 63, v0
	v_cmp_lt_u32_e64 s1, 0x7f, v0
	v_xor_b32_e32 v3, 31, v3
	v_cmp_lt_u32_e64 s2, 0xbf, v0
	v_cmp_lt_u32_e64 s3, 0xff, v0
	;; [unrolled: 1-line block ×4, first 2 shown]
	v_lshrrev_b32_e64 v3, v3, -1
	v_cmp_lt_u32_e64 s6, 0x1bf, v0
	v_cmp_lt_u32_e64 s7, 0x1ff, v0
	;; [unrolled: 1-line block ×9, first 2 shown]
	v_or_b32_e32 v5, 0xfffffc00, v0
	v_mov_b32_e32 v6, 0
	s_waitcnt lgkmcnt(0)
	s_mov_b32 s16, 0
	v_cmp_eq_u32_e32 vcc_lo, 0x3ff, v0
	s_barrier
	buffer_gl0_inv
	s_branch .LBB17_31
.LBB17_30:                              ;   in Loop: Header=BB17_31 Depth=1
	s_or_b32 exec_lo, exec_lo, s15
	s_waitcnt lgkmcnt(0)
	s_barrier
	buffer_gl0_inv
	ds_read_b32 v7, v1 offset:32828
	v_add_nc_u32_e32 v5, 0x400, v5
	v_add_nc_u32_e32 v4, 0x1000, v4
	v_cmp_lt_u32_e64 s15, 0x1bff, v5
	s_or_b32 s16, s15, s16
	s_waitcnt lgkmcnt(0)
	v_add_nc_u32_e32 v6, v7, v6
	s_andn2_b32 exec_lo, exec_lo, s16
	s_cbranch_execz .LBB17_65
.LBB17_31:                              ; =>This Inner Loop Header: Depth=1
	ds_read_b32 v7, v4
	s_waitcnt lgkmcnt(0)
	s_barrier
	buffer_gl0_inv
	v_cmp_gt_i32_e64 s15, s26, v7
	v_and_b32_e32 v8, s15, v3
	s_bcnt1_i32_b32 s17, s15
	v_mov_b32_e32 v9, s17
	v_bcnt_u32_b32 v8, v8, 0
	ds_write_b32 v2, v9 offset:32768
	s_waitcnt lgkmcnt(0)
	s_barrier
	buffer_gl0_inv
	s_and_saveexec_b32 s17, s0
	s_cbranch_execnz .LBB17_48
; %bb.32:                               ;   in Loop: Header=BB17_31 Depth=1
	s_or_b32 exec_lo, exec_lo, s17
	s_and_saveexec_b32 s17, s1
	s_cbranch_execnz .LBB17_49
.LBB17_33:                              ;   in Loop: Header=BB17_31 Depth=1
	s_or_b32 exec_lo, exec_lo, s17
	s_and_saveexec_b32 s17, s2
	s_cbranch_execnz .LBB17_50
.LBB17_34:                              ;   in Loop: Header=BB17_31 Depth=1
	s_or_b32 exec_lo, exec_lo, s17
	s_and_saveexec_b32 s17, s3
	s_cbranch_execnz .LBB17_51
.LBB17_35:                              ;   in Loop: Header=BB17_31 Depth=1
	s_or_b32 exec_lo, exec_lo, s17
	s_and_saveexec_b32 s17, s4
	s_cbranch_execnz .LBB17_52
.LBB17_36:                              ;   in Loop: Header=BB17_31 Depth=1
	s_or_b32 exec_lo, exec_lo, s17
	s_and_saveexec_b32 s17, s5
	s_cbranch_execnz .LBB17_53
.LBB17_37:                              ;   in Loop: Header=BB17_31 Depth=1
	s_or_b32 exec_lo, exec_lo, s17
	s_and_saveexec_b32 s17, s6
	s_cbranch_execnz .LBB17_54
.LBB17_38:                              ;   in Loop: Header=BB17_31 Depth=1
	s_or_b32 exec_lo, exec_lo, s17
	s_and_saveexec_b32 s17, s7
	s_cbranch_execnz .LBB17_55
.LBB17_39:                              ;   in Loop: Header=BB17_31 Depth=1
	s_or_b32 exec_lo, exec_lo, s17
	s_and_saveexec_b32 s17, s8
	s_cbranch_execnz .LBB17_56
.LBB17_40:                              ;   in Loop: Header=BB17_31 Depth=1
	s_or_b32 exec_lo, exec_lo, s17
	s_and_saveexec_b32 s17, s9
	s_cbranch_execnz .LBB17_57
.LBB17_41:                              ;   in Loop: Header=BB17_31 Depth=1
	s_or_b32 exec_lo, exec_lo, s17
	s_and_saveexec_b32 s17, s10
	s_cbranch_execnz .LBB17_58
.LBB17_42:                              ;   in Loop: Header=BB17_31 Depth=1
	s_or_b32 exec_lo, exec_lo, s17
	s_and_saveexec_b32 s17, s11
	s_cbranch_execnz .LBB17_59
.LBB17_43:                              ;   in Loop: Header=BB17_31 Depth=1
	s_or_b32 exec_lo, exec_lo, s17
	s_and_saveexec_b32 s17, s12
	s_cbranch_execnz .LBB17_60
.LBB17_44:                              ;   in Loop: Header=BB17_31 Depth=1
	s_or_b32 exec_lo, exec_lo, s17
	s_and_saveexec_b32 s17, s13
	s_cbranch_execnz .LBB17_61
.LBB17_45:                              ;   in Loop: Header=BB17_31 Depth=1
	s_or_b32 exec_lo, exec_lo, s17
	s_and_saveexec_b32 s17, s14
	s_cbranch_execnz .LBB17_62
.LBB17_46:                              ;   in Loop: Header=BB17_31 Depth=1
	s_or_b32 exec_lo, exec_lo, s17
	s_and_saveexec_b32 s17, s15
	s_cbranch_execnz .LBB17_63
.LBB17_47:                              ;   in Loop: Header=BB17_31 Depth=1
	s_or_b32 exec_lo, exec_lo, s17
	s_and_saveexec_b32 s15, vcc_lo
	s_cbranch_execz .LBB17_30
	s_branch .LBB17_64
.LBB17_48:                              ;   in Loop: Header=BB17_31 Depth=1
	ds_read_b32 v9, v1 offset:32768
	s_waitcnt lgkmcnt(0)
	v_add_nc_u32_e32 v8, v9, v8
	s_or_b32 exec_lo, exec_lo, s17
	s_and_saveexec_b32 s17, s1
	s_cbranch_execz .LBB17_33
.LBB17_49:                              ;   in Loop: Header=BB17_31 Depth=1
	ds_read_b32 v9, v1 offset:32772
	s_waitcnt lgkmcnt(0)
	v_add_nc_u32_e32 v8, v9, v8
	s_or_b32 exec_lo, exec_lo, s17
	s_and_saveexec_b32 s17, s2
	s_cbranch_execz .LBB17_34
.LBB17_50:                              ;   in Loop: Header=BB17_31 Depth=1
	ds_read_b32 v9, v1 offset:32776
	s_waitcnt lgkmcnt(0)
	v_add_nc_u32_e32 v8, v9, v8
	s_or_b32 exec_lo, exec_lo, s17
	s_and_saveexec_b32 s17, s3
	s_cbranch_execz .LBB17_35
.LBB17_51:                              ;   in Loop: Header=BB17_31 Depth=1
	ds_read_b32 v9, v1 offset:32780
	s_waitcnt lgkmcnt(0)
	v_add_nc_u32_e32 v8, v9, v8
	s_or_b32 exec_lo, exec_lo, s17
	s_and_saveexec_b32 s17, s4
	s_cbranch_execz .LBB17_36
.LBB17_52:                              ;   in Loop: Header=BB17_31 Depth=1
	ds_read_b32 v9, v1 offset:32784
	s_waitcnt lgkmcnt(0)
	v_add_nc_u32_e32 v8, v9, v8
	s_or_b32 exec_lo, exec_lo, s17
	s_and_saveexec_b32 s17, s5
	s_cbranch_execz .LBB17_37
.LBB17_53:                              ;   in Loop: Header=BB17_31 Depth=1
	ds_read_b32 v9, v1 offset:32788
	s_waitcnt lgkmcnt(0)
	v_add_nc_u32_e32 v8, v9, v8
	s_or_b32 exec_lo, exec_lo, s17
	s_and_saveexec_b32 s17, s6
	s_cbranch_execz .LBB17_38
.LBB17_54:                              ;   in Loop: Header=BB17_31 Depth=1
	ds_read_b32 v9, v1 offset:32792
	s_waitcnt lgkmcnt(0)
	v_add_nc_u32_e32 v8, v9, v8
	s_or_b32 exec_lo, exec_lo, s17
	s_and_saveexec_b32 s17, s7
	s_cbranch_execz .LBB17_39
.LBB17_55:                              ;   in Loop: Header=BB17_31 Depth=1
	ds_read_b32 v9, v1 offset:32796
	s_waitcnt lgkmcnt(0)
	v_add_nc_u32_e32 v8, v9, v8
	s_or_b32 exec_lo, exec_lo, s17
	s_and_saveexec_b32 s17, s8
	s_cbranch_execz .LBB17_40
.LBB17_56:                              ;   in Loop: Header=BB17_31 Depth=1
	ds_read_b32 v9, v1 offset:32800
	s_waitcnt lgkmcnt(0)
	v_add_nc_u32_e32 v8, v9, v8
	s_or_b32 exec_lo, exec_lo, s17
	s_and_saveexec_b32 s17, s9
	s_cbranch_execz .LBB17_41
.LBB17_57:                              ;   in Loop: Header=BB17_31 Depth=1
	ds_read_b32 v9, v1 offset:32804
	s_waitcnt lgkmcnt(0)
	v_add_nc_u32_e32 v8, v9, v8
	s_or_b32 exec_lo, exec_lo, s17
	s_and_saveexec_b32 s17, s10
	s_cbranch_execz .LBB17_42
.LBB17_58:                              ;   in Loop: Header=BB17_31 Depth=1
	ds_read_b32 v9, v1 offset:32808
	s_waitcnt lgkmcnt(0)
	v_add_nc_u32_e32 v8, v9, v8
	s_or_b32 exec_lo, exec_lo, s17
	s_and_saveexec_b32 s17, s11
	s_cbranch_execz .LBB17_43
.LBB17_59:                              ;   in Loop: Header=BB17_31 Depth=1
	ds_read_b32 v9, v1 offset:32812
	s_waitcnt lgkmcnt(0)
	v_add_nc_u32_e32 v8, v9, v8
	s_or_b32 exec_lo, exec_lo, s17
	s_and_saveexec_b32 s17, s12
	s_cbranch_execz .LBB17_44
.LBB17_60:                              ;   in Loop: Header=BB17_31 Depth=1
	ds_read_b32 v9, v1 offset:32816
	s_waitcnt lgkmcnt(0)
	v_add_nc_u32_e32 v8, v9, v8
	s_or_b32 exec_lo, exec_lo, s17
	s_and_saveexec_b32 s17, s13
	s_cbranch_execz .LBB17_45
.LBB17_61:                              ;   in Loop: Header=BB17_31 Depth=1
	ds_read_b32 v9, v1 offset:32820
	s_waitcnt lgkmcnt(0)
	v_add_nc_u32_e32 v8, v9, v8
	s_or_b32 exec_lo, exec_lo, s17
	s_and_saveexec_b32 s17, s14
	s_cbranch_execz .LBB17_46
.LBB17_62:                              ;   in Loop: Header=BB17_31 Depth=1
	ds_read_b32 v9, v1 offset:32824
	s_waitcnt lgkmcnt(0)
	v_add_nc_u32_e32 v8, v9, v8
	s_or_b32 exec_lo, exec_lo, s17
	s_and_saveexec_b32 s17, s15
	s_cbranch_execz .LBB17_47
.LBB17_63:                              ;   in Loop: Header=BB17_31 Depth=1
	v_lshlrev_b32_e32 v9, 2, v6
	v_lshlrev_b32_e32 v10, 2, v8
	v_add_nc_u32_e32 v9, 0, v9
	v_add3_u32 v9, v9, v10, -4
	ds_write_b32 v9, v7
	s_or_b32 exec_lo, exec_lo, s17
	s_and_saveexec_b32 s15, vcc_lo
	s_cbranch_execz .LBB17_30
.LBB17_64:                              ;   in Loop: Header=BB17_31 Depth=1
	ds_write_b32 v1, v8 offset:32828
	s_branch .LBB17_30
.LBB17_65:
	s_or_b32 exec_lo, exec_lo, s16
	s_ashr_i32 s25, s24, 31
	s_mov_b32 s3, exec_lo
	s_lshl_b64 s[0:1], s[24:25], 2
	s_add_u32 s0, s20, s0
	s_addc_u32 s1, s21, s1
	s_load_dwordx2 s[0:1], s[0:1], 0x0
	s_waitcnt lgkmcnt(0)
	s_sub_i32 s2, s1, s0
	v_cmpx_gt_i32_e64 s2, v0
	s_cbranch_execz .LBB17_75
; %bb.66:
	s_sub_i32 s3, s0, s18
	s_sub_i32 s0, s0, s1
	s_and_b32 s1, s2, 7
	s_cmp_lt_u32 s0, -7
	s_mov_b32 s7, 0
	s_cselect_b32 s4, -1, 0
	s_and_b32 s5, s2, -8
	s_cmp_lg_u32 s1, 0
	s_cselect_b32 s6, -1, 0
	s_branch .LBB17_68
.LBB17_67:                              ;   in Loop: Header=BB17_68 Depth=1
	v_ashrrev_i32_e32 v2, 31, v1
	v_add_nc_u32_e32 v0, 0x400, v0
	s_waitcnt lgkmcnt(0)
	v_add_nc_u32_e32 v3, s18, v3
	v_lshlrev_b64 v[1:2], 2, v[1:2]
	v_cmp_le_i32_e32 vcc_lo, s2, v0
	s_or_b32 s7, vcc_lo, s7
	v_add_co_u32 v1, s0, s22, v1
	v_add_co_ci_u32_e64 v2, null, s23, v2, s0
	global_store_dword v[1:2], v3, off
	s_andn2_b32 exec_lo, exec_lo, s7
	s_cbranch_execz .LBB17_75
.LBB17_68:                              ; =>This Loop Header: Depth=1
                                        ;     Child Loop BB17_70 Depth 2
                                        ;     Child Loop BB17_74 Depth 2
	v_lshl_add_u32 v1, v0, 2, 0
	s_andn2_b32 vcc_lo, exec_lo, s4
	s_mov_b32 s0, 0
	ds_read_b32 v3, v1
	v_mov_b32_e32 v1, s3
	s_cbranch_vccnz .LBB17_72
; %bb.69:                               ;   in Loop: Header=BB17_68 Depth=1
	v_mov_b32_e32 v1, s3
	s_mov_b32 s8, 0
	s_inst_prefetch 0x1
	.p2align	6
.LBB17_70:                              ;   Parent Loop BB17_68 Depth=1
                                        ; =>  This Inner Loop Header: Depth=2
	v_mov_b32_e32 v2, s8
	s_add_i32 s0, s0, 8
	s_add_i32 s8, s8, 32
	s_cmp_eq_u32 s5, s0
	ds_read2_b32 v[4:5], v2 offset1:1
	ds_read2_b32 v[6:7], v2 offset0:2 offset1:3
	ds_read2_b32 v[8:9], v2 offset0:4 offset1:5
	;; [unrolled: 1-line block ×3, first 2 shown]
	s_waitcnt lgkmcnt(3)
	v_cmp_gt_i32_e32 vcc_lo, v3, v4
	v_cndmask_b32_e64 v2, 0, 1, vcc_lo
	s_waitcnt lgkmcnt(2)
	v_cmp_gt_i32_e32 vcc_lo, v3, v6
	v_cndmask_b32_e64 v4, 0, 1, vcc_lo
	v_cmp_gt_i32_e32 vcc_lo, v3, v5
	v_add_co_ci_u32_e64 v1, null, v1, v2, vcc_lo
	s_waitcnt lgkmcnt(1)
	v_cmp_gt_i32_e32 vcc_lo, v3, v8
	v_cndmask_b32_e64 v2, 0, 1, vcc_lo
	v_cmp_gt_i32_e32 vcc_lo, v3, v7
	v_add_co_ci_u32_e64 v1, null, v1, v4, vcc_lo
	;; [unrolled: 5-line block ×3, first 2 shown]
	v_cmp_gt_i32_e32 vcc_lo, v3, v11
	v_add_co_ci_u32_e64 v1, null, v1, v4, vcc_lo
	s_cbranch_scc0 .LBB17_70
; %bb.71:                               ;   in Loop: Header=BB17_68 Depth=1
	s_inst_prefetch 0x2
	s_mov_b32 s0, s5
.LBB17_72:                              ;   in Loop: Header=BB17_68 Depth=1
	s_andn2_b32 vcc_lo, exec_lo, s6
	s_cbranch_vccnz .LBB17_67
; %bb.73:                               ;   in Loop: Header=BB17_68 Depth=1
	s_lshl_b32 s0, s0, 2
	s_mov_b32 s8, s1
	s_add_i32 s0, s0, 0
.LBB17_74:                              ;   Parent Loop BB17_68 Depth=1
                                        ; =>  This Inner Loop Header: Depth=2
	v_mov_b32_e32 v2, s0
	s_add_i32 s8, s8, -1
	s_add_i32 s0, s0, 4
	s_cmp_lg_u32 s8, 0
	ds_read_b32 v2, v2
	s_waitcnt lgkmcnt(0)
	v_cmp_gt_i32_e32 vcc_lo, v3, v2
	v_add_co_ci_u32_e64 v1, null, 0, v1, vcc_lo
	s_cbranch_scc1 .LBB17_74
	s_branch .LBB17_67
.LBB17_75:
	s_endpgm
	.section	.rodata,"a",@progbits
	.p2align	6, 0x0
	.amdhsa_kernel _ZN9rocsparseL35csrgemm_symbolic_fill_block_per_rowILj1024ELj64ELj8192ELj137ELj64EiiEEvT5_PKS1_S3_PKT4_S3_S6_S3_S6_S3_S6_PS1_21rocsparse_index_base_S8_S8_S8_bb
		.amdhsa_group_segment_fixed_size 0
		.amdhsa_private_segment_fixed_size 0
		.amdhsa_kernarg_size 108
		.amdhsa_user_sgpr_count 6
		.amdhsa_user_sgpr_private_segment_buffer 1
		.amdhsa_user_sgpr_dispatch_ptr 0
		.amdhsa_user_sgpr_queue_ptr 0
		.amdhsa_user_sgpr_kernarg_segment_ptr 1
		.amdhsa_user_sgpr_dispatch_id 0
		.amdhsa_user_sgpr_flat_scratch_init 0
		.amdhsa_user_sgpr_private_segment_size 0
		.amdhsa_wavefront_size32 1
		.amdhsa_uses_dynamic_stack 0
		.amdhsa_system_sgpr_private_segment_wavefront_offset 0
		.amdhsa_system_sgpr_workgroup_id_x 1
		.amdhsa_system_sgpr_workgroup_id_y 0
		.amdhsa_system_sgpr_workgroup_id_z 0
		.amdhsa_system_sgpr_workgroup_info 0
		.amdhsa_system_vgpr_workitem_id 0
		.amdhsa_next_free_vgpr 12
		.amdhsa_next_free_sgpr 27
		.amdhsa_reserve_vcc 1
		.amdhsa_reserve_flat_scratch 0
		.amdhsa_float_round_mode_32 0
		.amdhsa_float_round_mode_16_64 0
		.amdhsa_float_denorm_mode_32 3
		.amdhsa_float_denorm_mode_16_64 3
		.amdhsa_dx10_clamp 1
		.amdhsa_ieee_mode 1
		.amdhsa_fp16_overflow 0
		.amdhsa_workgroup_processor_mode 1
		.amdhsa_memory_ordered 1
		.amdhsa_forward_progress 1
		.amdhsa_shared_vgpr_count 0
		.amdhsa_exception_fp_ieee_invalid_op 0
		.amdhsa_exception_fp_denorm_src 0
		.amdhsa_exception_fp_ieee_div_zero 0
		.amdhsa_exception_fp_ieee_overflow 0
		.amdhsa_exception_fp_ieee_underflow 0
		.amdhsa_exception_fp_ieee_inexact 0
		.amdhsa_exception_int_div_zero 0
	.end_amdhsa_kernel
	.section	.text._ZN9rocsparseL35csrgemm_symbolic_fill_block_per_rowILj1024ELj64ELj8192ELj137ELj64EiiEEvT5_PKS1_S3_PKT4_S3_S6_S3_S6_S3_S6_PS1_21rocsparse_index_base_S8_S8_S8_bb,"axG",@progbits,_ZN9rocsparseL35csrgemm_symbolic_fill_block_per_rowILj1024ELj64ELj8192ELj137ELj64EiiEEvT5_PKS1_S3_PKT4_S3_S6_S3_S6_S3_S6_PS1_21rocsparse_index_base_S8_S8_S8_bb,comdat
.Lfunc_end17:
	.size	_ZN9rocsparseL35csrgemm_symbolic_fill_block_per_rowILj1024ELj64ELj8192ELj137ELj64EiiEEvT5_PKS1_S3_PKT4_S3_S6_S3_S6_S3_S6_PS1_21rocsparse_index_base_S8_S8_S8_bb, .Lfunc_end17-_ZN9rocsparseL35csrgemm_symbolic_fill_block_per_rowILj1024ELj64ELj8192ELj137ELj64EiiEEvT5_PKS1_S3_PKT4_S3_S6_S3_S6_S3_S6_PS1_21rocsparse_index_base_S8_S8_S8_bb
                                        ; -- End function
	.set _ZN9rocsparseL35csrgemm_symbolic_fill_block_per_rowILj1024ELj64ELj8192ELj137ELj64EiiEEvT5_PKS1_S3_PKT4_S3_S6_S3_S6_S3_S6_PS1_21rocsparse_index_base_S8_S8_S8_bb.num_vgpr, 12
	.set _ZN9rocsparseL35csrgemm_symbolic_fill_block_per_rowILj1024ELj64ELj8192ELj137ELj64EiiEEvT5_PKS1_S3_PKT4_S3_S6_S3_S6_S3_S6_PS1_21rocsparse_index_base_S8_S8_S8_bb.num_agpr, 0
	.set _ZN9rocsparseL35csrgemm_symbolic_fill_block_per_rowILj1024ELj64ELj8192ELj137ELj64EiiEEvT5_PKS1_S3_PKT4_S3_S6_S3_S6_S3_S6_PS1_21rocsparse_index_base_S8_S8_S8_bb.numbered_sgpr, 27
	.set _ZN9rocsparseL35csrgemm_symbolic_fill_block_per_rowILj1024ELj64ELj8192ELj137ELj64EiiEEvT5_PKS1_S3_PKT4_S3_S6_S3_S6_S3_S6_PS1_21rocsparse_index_base_S8_S8_S8_bb.num_named_barrier, 0
	.set _ZN9rocsparseL35csrgemm_symbolic_fill_block_per_rowILj1024ELj64ELj8192ELj137ELj64EiiEEvT5_PKS1_S3_PKT4_S3_S6_S3_S6_S3_S6_PS1_21rocsparse_index_base_S8_S8_S8_bb.private_seg_size, 0
	.set _ZN9rocsparseL35csrgemm_symbolic_fill_block_per_rowILj1024ELj64ELj8192ELj137ELj64EiiEEvT5_PKS1_S3_PKT4_S3_S6_S3_S6_S3_S6_PS1_21rocsparse_index_base_S8_S8_S8_bb.uses_vcc, 1
	.set _ZN9rocsparseL35csrgemm_symbolic_fill_block_per_rowILj1024ELj64ELj8192ELj137ELj64EiiEEvT5_PKS1_S3_PKT4_S3_S6_S3_S6_S3_S6_PS1_21rocsparse_index_base_S8_S8_S8_bb.uses_flat_scratch, 0
	.set _ZN9rocsparseL35csrgemm_symbolic_fill_block_per_rowILj1024ELj64ELj8192ELj137ELj64EiiEEvT5_PKS1_S3_PKT4_S3_S6_S3_S6_S3_S6_PS1_21rocsparse_index_base_S8_S8_S8_bb.has_dyn_sized_stack, 0
	.set _ZN9rocsparseL35csrgemm_symbolic_fill_block_per_rowILj1024ELj64ELj8192ELj137ELj64EiiEEvT5_PKS1_S3_PKT4_S3_S6_S3_S6_S3_S6_PS1_21rocsparse_index_base_S8_S8_S8_bb.has_recursion, 0
	.set _ZN9rocsparseL35csrgemm_symbolic_fill_block_per_rowILj1024ELj64ELj8192ELj137ELj64EiiEEvT5_PKS1_S3_PKT4_S3_S6_S3_S6_S3_S6_PS1_21rocsparse_index_base_S8_S8_S8_bb.has_indirect_call, 0
	.section	.AMDGPU.csdata,"",@progbits
; Kernel info:
; codeLenInByte = 2676
; TotalNumSgprs: 29
; NumVgprs: 12
; ScratchSize: 0
; MemoryBound: 0
; FloatMode: 240
; IeeeMode: 1
; LDSByteSize: 0 bytes/workgroup (compile time only)
; SGPRBlocks: 0
; VGPRBlocks: 1
; NumSGPRsForWavesPerEU: 29
; NumVGPRsForWavesPerEU: 12
; Occupancy: 16
; WaveLimiterHint : 1
; COMPUTE_PGM_RSRC2:SCRATCH_EN: 0
; COMPUTE_PGM_RSRC2:USER_SGPR: 6
; COMPUTE_PGM_RSRC2:TRAP_HANDLER: 0
; COMPUTE_PGM_RSRC2:TGID_X_EN: 1
; COMPUTE_PGM_RSRC2:TGID_Y_EN: 0
; COMPUTE_PGM_RSRC2:TGID_Z_EN: 0
; COMPUTE_PGM_RSRC2:TIDIG_COMP_CNT: 0
	.section	.text._ZN9rocsparseL35csrgemm_symbolic_fill_block_per_rowILj1024ELj64ELj16384ELj137ELj32EiiEEvT5_PKS1_S3_PKT4_S3_S6_S3_S6_S3_S6_PS1_21rocsparse_index_base_S8_S8_S8_bb,"axG",@progbits,_ZN9rocsparseL35csrgemm_symbolic_fill_block_per_rowILj1024ELj64ELj16384ELj137ELj32EiiEEvT5_PKS1_S3_PKT4_S3_S6_S3_S6_S3_S6_PS1_21rocsparse_index_base_S8_S8_S8_bb,comdat
	.globl	_ZN9rocsparseL35csrgemm_symbolic_fill_block_per_rowILj1024ELj64ELj16384ELj137ELj32EiiEEvT5_PKS1_S3_PKT4_S3_S6_S3_S6_S3_S6_PS1_21rocsparse_index_base_S8_S8_S8_bb ; -- Begin function _ZN9rocsparseL35csrgemm_symbolic_fill_block_per_rowILj1024ELj64ELj16384ELj137ELj32EiiEEvT5_PKS1_S3_PKT4_S3_S6_S3_S6_S3_S6_PS1_21rocsparse_index_base_S8_S8_S8_bb
	.p2align	8
	.type	_ZN9rocsparseL35csrgemm_symbolic_fill_block_per_rowILj1024ELj64ELj16384ELj137ELj32EiiEEvT5_PKS1_S3_PKT4_S3_S6_S3_S6_S3_S6_PS1_21rocsparse_index_base_S8_S8_S8_bb,@function
_ZN9rocsparseL35csrgemm_symbolic_fill_block_per_rowILj1024ELj64ELj16384ELj137ELj32EiiEEvT5_PKS1_S3_PKT4_S3_S6_S3_S6_S3_S6_PS1_21rocsparse_index_base_S8_S8_S8_bb: ; @_ZN9rocsparseL35csrgemm_symbolic_fill_block_per_rowILj1024ELj64ELj16384ELj137ELj32EiiEEvT5_PKS1_S3_PKT4_S3_S6_S3_S6_S3_S6_PS1_21rocsparse_index_base_S8_S8_S8_bb
; %bb.0:
	s_clause 0x3
	s_load_dword s33, s[4:5], 0x0
	s_load_dwordx4 s[36:39], s[4:5], 0x48
	s_load_dwordx8 s[8:15], s[4:5], 0x28
	s_load_dwordx8 s[16:23], s[4:5], 0x8
	v_lshl_add_u32 v4, v0, 2, 0
	v_or_b32_e32 v5, 0xfffffc00, v0
	s_mov_b32 s0, 0
	v_mov_b32_e32 v1, v4
	v_mov_b32_e32 v3, v5
	s_waitcnt lgkmcnt(0)
	v_mov_b32_e32 v2, s33
.LBB18_1:                               ; =>This Inner Loop Header: Depth=1
	v_add_nc_u32_e32 v3, 0x400, v3
	ds_write_b32 v1, v2
	v_add_nc_u32_e32 v1, 0x1000, v1
	v_cmp_lt_u32_e32 vcc_lo, 0x3bff, v3
	s_or_b32 s0, vcc_lo, s0
	s_andn2_b32 exec_lo, exec_lo, s0
	s_cbranch_execnz .LBB18_1
; %bb.2:
	s_or_b32 exec_lo, exec_lo, s0
	s_load_dword s0, s[4:5], 0x68
	s_waitcnt lgkmcnt(0)
	s_barrier
	buffer_gl0_inv
	s_load_dword s1, s[16:17], 0x0
	s_mov_b32 s3, 0
	s_bitcmp1_b32 s0, 0
	s_cselect_b32 s7, -1, 0
	s_waitcnt lgkmcnt(0)
	s_add_i32 s2, s1, s6
	s_lshl_b64 s[2:3], s[2:3], 2
	s_add_u32 s2, s18, s2
	s_addc_u32 s3, s19, s3
	s_load_dwordx4 s[40:43], s[4:5], 0x58
	s_load_dword s34, s[2:3], 0x0
	s_and_b32 vcc_lo, exec_lo, s7
	s_cbranch_vccz .LBB18_18
; %bb.3:
	s_waitcnt lgkmcnt(0)
	s_ashr_i32 s35, s34, 31
	v_lshrrev_b32_e32 v1, 6, v0
	s_lshl_b64 s[2:3], s[34:35], 2
	s_add_u32 s2, s20, s2
	s_addc_u32 s3, s21, s3
	v_subrev_nc_u32_e32 v1, s40, v1
	s_load_dwordx2 s[2:3], s[2:3], 0x0
	s_waitcnt lgkmcnt(0)
	v_add_nc_u32_e32 v1, s2, v1
	s_sub_i32 s1, s3, s40
	s_mov_b32 s2, exec_lo
	v_cmpx_gt_i32_e64 s1, v1
	s_cbranch_execz .LBB18_17
; %bb.4:
	v_and_b32_e32 v2, 63, v0
	s_mov_b32 s3, 0
	v_subrev_nc_u32_e32 v6, s41, v2
	s_branch .LBB18_6
.LBB18_5:                               ;   in Loop: Header=BB18_6 Depth=1
	s_or_b32 exec_lo, exec_lo, s4
	v_add_nc_u32_e32 v1, 16, v1
	v_cmp_le_i32_e32 vcc_lo, s1, v1
	s_or_b32 s3, vcc_lo, s3
	s_andn2_b32 exec_lo, exec_lo, s3
	s_cbranch_execz .LBB18_17
.LBB18_6:                               ; =>This Loop Header: Depth=1
                                        ;     Child Loop BB18_9 Depth 2
                                        ;       Child Loop BB18_12 Depth 3
	v_ashrrev_i32_e32 v2, 31, v1
	s_mov_b32 s4, exec_lo
	v_lshlrev_b64 v[2:3], 2, v[1:2]
	v_add_co_u32 v2, vcc_lo, s22, v2
	v_add_co_ci_u32_e64 v3, null, s23, v3, vcc_lo
	global_load_dword v2, v[2:3], off
	s_waitcnt vmcnt(0)
	v_subrev_nc_u32_e32 v2, s40, v2
	v_ashrrev_i32_e32 v3, 31, v2
	v_lshlrev_b64 v[2:3], 2, v[2:3]
	v_add_co_u32 v2, vcc_lo, s8, v2
	v_add_co_ci_u32_e64 v3, null, s9, v3, vcc_lo
	global_load_dwordx2 v[2:3], v[2:3], off
	s_waitcnt vmcnt(0)
	v_subrev_nc_u32_e32 v7, s41, v3
	v_add_nc_u32_e32 v2, v2, v6
	v_cmpx_lt_i32_e64 v2, v7
	s_cbranch_execz .LBB18_5
; %bb.7:                                ;   in Loop: Header=BB18_6 Depth=1
	s_mov_b32 s5, 0
	s_branch .LBB18_9
.LBB18_8:                               ;   in Loop: Header=BB18_9 Depth=2
	s_inst_prefetch 0x2
	s_or_b32 exec_lo, exec_lo, s6
	v_add_nc_u32_e32 v2, 64, v2
	v_cmp_ge_i32_e32 vcc_lo, v2, v7
	s_or_b32 s5, vcc_lo, s5
	s_andn2_b32 exec_lo, exec_lo, s5
	s_cbranch_execz .LBB18_5
.LBB18_9:                               ;   Parent Loop BB18_6 Depth=1
                                        ; =>  This Loop Header: Depth=2
                                        ;       Child Loop BB18_12 Depth 3
	v_ashrrev_i32_e32 v3, 31, v2
	s_mov_b32 s6, 0
                                        ; implicit-def: $sgpr7
	v_lshlrev_b64 v[8:9], 2, v[2:3]
	v_add_co_u32 v8, vcc_lo, s10, v8
	v_add_co_ci_u32_e64 v9, null, s11, v9, vcc_lo
	global_load_dword v3, v[8:9], off
	s_waitcnt vmcnt(0)
	v_subrev_nc_u32_e32 v3, s41, v3
	v_mul_lo_u32 v8, 0x89, v3
	v_and_b32_e32 v8, 0x3fff, v8
	s_inst_prefetch 0x1
	s_branch .LBB18_12
	.p2align	6
.LBB18_10:                              ;   in Loop: Header=BB18_12 Depth=3
	s_or_b32 exec_lo, exec_lo, s17
	s_andn2_b32 s7, s7, exec_lo
	s_and_b32 s17, s18, exec_lo
	s_or_b32 s7, s7, s17
.LBB18_11:                              ;   in Loop: Header=BB18_12 Depth=3
	s_or_b32 exec_lo, exec_lo, s16
	s_xor_b32 s16, s7, -1
	s_and_b32 s16, exec_lo, s16
	s_or_b32 s6, s16, s6
	s_andn2_b32 exec_lo, exec_lo, s6
	s_cbranch_execz .LBB18_8
.LBB18_12:                              ;   Parent Loop BB18_6 Depth=1
                                        ;     Parent Loop BB18_9 Depth=2
                                        ; =>    This Inner Loop Header: Depth=3
	v_lshl_add_u32 v9, v8, 2, 0
	s_andn2_b32 s7, s7, exec_lo
	s_mov_b32 s16, exec_lo
	ds_read_b32 v10, v9
	s_waitcnt lgkmcnt(0)
	v_cmpx_ne_u32_e64 v10, v3
	s_cbranch_execz .LBB18_11
; %bb.13:                               ;   in Loop: Header=BB18_12 Depth=3
	s_mov_b32 s17, exec_lo
	v_cmpx_ne_u32_e64 s33, v10
	s_xor_b32 s17, exec_lo, s17
; %bb.14:                               ;   in Loop: Header=BB18_12 Depth=3
	v_add_nc_u32_e32 v8, 1, v8
                                        ; implicit-def: $vgpr9
	v_and_b32_e32 v8, 0x3fff, v8
; %bb.15:                               ;   in Loop: Header=BB18_12 Depth=3
	s_or_saveexec_b32 s17, s17
	s_mov_b32 s18, -1
	s_xor_b32 exec_lo, exec_lo, s17
	s_cbranch_execz .LBB18_10
; %bb.16:                               ;   in Loop: Header=BB18_12 Depth=3
	v_mov_b32_e32 v10, s33
	ds_cmpst_rtn_b32 v9, v9, v10, v3
	s_waitcnt lgkmcnt(0)
	v_cmp_ne_u32_e32 vcc_lo, s33, v9
	s_orn2_b32 s18, vcc_lo, exec_lo
	s_branch .LBB18_10
.LBB18_17:
	s_or_b32 exec_lo, exec_lo, s2
.LBB18_18:
	s_bfe_u32 s0, s0, 0x10008
	s_cmp_eq_u32 s0, 0
	s_cbranch_scc1 .LBB18_31
; %bb.19:
	s_waitcnt lgkmcnt(0)
	s_ashr_i32 s35, s34, 31
	v_subrev_nc_u32_e32 v1, s43, v0
	s_lshl_b64 s[0:1], s[34:35], 2
	s_add_u32 s0, s12, s0
	s_addc_u32 s1, s13, s1
	s_load_dwordx2 s[0:1], s[0:1], 0x0
	s_waitcnt lgkmcnt(0)
	v_add_nc_u32_e32 v1, s0, v1
	s_sub_i32 s0, s1, s43
	s_mov_b32 s1, exec_lo
	v_cmpx_gt_i32_e64 s0, v1
	s_cbranch_execz .LBB18_30
; %bb.20:
	s_mov_b32 s2, 0
	s_branch .LBB18_22
.LBB18_21:                              ;   in Loop: Header=BB18_22 Depth=1
	s_inst_prefetch 0x2
	s_or_b32 exec_lo, exec_lo, s3
	v_add_nc_u32_e32 v1, 0x400, v1
	v_cmp_le_i32_e32 vcc_lo, s0, v1
	s_or_b32 s2, vcc_lo, s2
	s_andn2_b32 exec_lo, exec_lo, s2
	s_cbranch_execz .LBB18_30
.LBB18_22:                              ; =>This Loop Header: Depth=1
                                        ;     Child Loop BB18_25 Depth 2
	v_ashrrev_i32_e32 v2, 31, v1
	s_mov_b32 s3, 0
                                        ; implicit-def: $sgpr4
	v_lshlrev_b64 v[2:3], 2, v[1:2]
	v_add_co_u32 v2, vcc_lo, s14, v2
	v_add_co_ci_u32_e64 v3, null, s15, v3, vcc_lo
	global_load_dword v2, v[2:3], off
	s_waitcnt vmcnt(0)
	v_subrev_nc_u32_e32 v2, s43, v2
	v_mul_lo_u32 v3, 0x89, v2
	v_and_b32_e32 v3, 0x3fff, v3
	s_inst_prefetch 0x1
	s_branch .LBB18_25
	.p2align	6
.LBB18_23:                              ;   in Loop: Header=BB18_25 Depth=2
	s_or_b32 exec_lo, exec_lo, s6
	s_andn2_b32 s4, s4, exec_lo
	s_and_b32 s6, s7, exec_lo
	s_or_b32 s4, s4, s6
.LBB18_24:                              ;   in Loop: Header=BB18_25 Depth=2
	s_or_b32 exec_lo, exec_lo, s5
	s_xor_b32 s5, s4, -1
	s_and_b32 s5, exec_lo, s5
	s_or_b32 s3, s5, s3
	s_andn2_b32 exec_lo, exec_lo, s3
	s_cbranch_execz .LBB18_21
.LBB18_25:                              ;   Parent Loop BB18_22 Depth=1
                                        ; =>  This Inner Loop Header: Depth=2
	v_lshl_add_u32 v6, v3, 2, 0
	s_andn2_b32 s4, s4, exec_lo
	s_mov_b32 s5, exec_lo
	ds_read_b32 v7, v6
	s_waitcnt lgkmcnt(0)
	v_cmpx_ne_u32_e64 v7, v2
	s_cbranch_execz .LBB18_24
; %bb.26:                               ;   in Loop: Header=BB18_25 Depth=2
	s_mov_b32 s6, exec_lo
	v_cmpx_ne_u32_e64 s33, v7
	s_xor_b32 s6, exec_lo, s6
; %bb.27:                               ;   in Loop: Header=BB18_25 Depth=2
	v_add_nc_u32_e32 v3, 1, v3
                                        ; implicit-def: $vgpr6
	v_and_b32_e32 v3, 0x3fff, v3
; %bb.28:                               ;   in Loop: Header=BB18_25 Depth=2
	s_or_saveexec_b32 s6, s6
	s_mov_b32 s7, -1
	s_xor_b32 exec_lo, exec_lo, s6
	s_cbranch_execz .LBB18_23
; %bb.29:                               ;   in Loop: Header=BB18_25 Depth=2
	v_mov_b32_e32 v7, s33
	ds_cmpst_rtn_b32 v6, v6, v7, v2
	s_waitcnt lgkmcnt(0)
	v_cmp_ne_u32_e32 vcc_lo, s33, v6
	s_orn2_b32 s7, vcc_lo, exec_lo
	s_branch .LBB18_23
.LBB18_30:
	s_or_b32 exec_lo, exec_lo, s1
.LBB18_31:
	v_mbcnt_lo_u32_b32 v1, -1, 0
	v_lshrrev_b32_e32 v2, 3, v0
	v_cmp_lt_u32_e64 s0, 31, v0
	v_cmp_lt_u32_e64 s1, 63, v0
	;; [unrolled: 1-line block ×3, first 2 shown]
	v_xor_b32_e32 v3, 31, v1
	v_and_b32_e32 v6, 0x7c, v2
	v_mov_b32_e32 v1, 0
	v_cmp_lt_u32_e64 s3, 0x7f, v0
	v_cmp_lt_u32_e64 s4, 0x9f, v0
	v_lshrrev_b32_e64 v2, v3, -1
	v_add3_u32 v3, 0x10000, 0, v6
	v_cmp_lt_u32_e64 s5, 0xbf, v0
	v_cmp_lt_u32_e64 s6, 0xdf, v0
	;; [unrolled: 1-line block ×26, first 2 shown]
	s_mov_b32 s35, 0
	s_waitcnt lgkmcnt(0)
	s_add_i32 s40, 0, 0x10000
	s_add_i32 s41, 0, 0x10004
	;; [unrolled: 1-line block ×32, first 2 shown]
	s_barrier
	v_cmp_eq_u32_e32 vcc_lo, 0x3ff, v0
	buffer_gl0_inv
	s_branch .LBB18_33
.LBB18_32:                              ;   in Loop: Header=BB18_33 Depth=1
	s_or_b32 exec_lo, exec_lo, s31
	v_mov_b32_e32 v6, s72
	s_waitcnt lgkmcnt(0)
	s_barrier
	buffer_gl0_inv
	v_add_nc_u32_e32 v5, 0x400, v5
	ds_read_b32 v6, v6
	v_add_nc_u32_e32 v4, 0x1000, v4
	v_cmp_lt_u32_e64 s31, 0x3bff, v5
	s_or_b32 s35, s31, s35
	s_waitcnt lgkmcnt(0)
	v_add_nc_u32_e32 v1, v6, v1
	s_andn2_b32 exec_lo, exec_lo, s35
	s_cbranch_execz .LBB18_99
.LBB18_33:                              ; =>This Inner Loop Header: Depth=1
	ds_read_b32 v6, v4
	s_waitcnt lgkmcnt(0)
	s_barrier
	buffer_gl0_inv
	v_cmp_gt_i32_e64 s31, s33, v6
	v_and_b32_e32 v7, s31, v2
	s_bcnt1_i32_b32 s73, s31
	v_mov_b32_e32 v8, s73
	v_bcnt_u32_b32 v7, v7, 0
	ds_write_b32 v3, v8
	s_waitcnt lgkmcnt(0)
	s_barrier
	buffer_gl0_inv
	s_and_saveexec_b32 s73, s0
	s_cbranch_execnz .LBB18_66
; %bb.34:                               ;   in Loop: Header=BB18_33 Depth=1
	s_or_b32 exec_lo, exec_lo, s73
	s_and_saveexec_b32 s73, s1
	s_cbranch_execnz .LBB18_67
.LBB18_35:                              ;   in Loop: Header=BB18_33 Depth=1
	s_or_b32 exec_lo, exec_lo, s73
	s_and_saveexec_b32 s73, s2
	s_cbranch_execnz .LBB18_68
.LBB18_36:                              ;   in Loop: Header=BB18_33 Depth=1
	s_or_b32 exec_lo, exec_lo, s73
	s_and_saveexec_b32 s73, s3
	s_cbranch_execnz .LBB18_69
.LBB18_37:                              ;   in Loop: Header=BB18_33 Depth=1
	s_or_b32 exec_lo, exec_lo, s73
	s_and_saveexec_b32 s73, s4
	s_cbranch_execnz .LBB18_70
.LBB18_38:                              ;   in Loop: Header=BB18_33 Depth=1
	s_or_b32 exec_lo, exec_lo, s73
	s_and_saveexec_b32 s73, s5
	s_cbranch_execnz .LBB18_71
.LBB18_39:                              ;   in Loop: Header=BB18_33 Depth=1
	s_or_b32 exec_lo, exec_lo, s73
	s_and_saveexec_b32 s73, s6
	s_cbranch_execnz .LBB18_72
.LBB18_40:                              ;   in Loop: Header=BB18_33 Depth=1
	s_or_b32 exec_lo, exec_lo, s73
	s_and_saveexec_b32 s73, s7
	s_cbranch_execnz .LBB18_73
.LBB18_41:                              ;   in Loop: Header=BB18_33 Depth=1
	s_or_b32 exec_lo, exec_lo, s73
	s_and_saveexec_b32 s73, s8
	s_cbranch_execnz .LBB18_74
.LBB18_42:                              ;   in Loop: Header=BB18_33 Depth=1
	s_or_b32 exec_lo, exec_lo, s73
	s_and_saveexec_b32 s73, s9
	s_cbranch_execnz .LBB18_75
.LBB18_43:                              ;   in Loop: Header=BB18_33 Depth=1
	s_or_b32 exec_lo, exec_lo, s73
	s_and_saveexec_b32 s73, s10
	s_cbranch_execnz .LBB18_76
.LBB18_44:                              ;   in Loop: Header=BB18_33 Depth=1
	s_or_b32 exec_lo, exec_lo, s73
	s_and_saveexec_b32 s73, s11
	s_cbranch_execnz .LBB18_77
.LBB18_45:                              ;   in Loop: Header=BB18_33 Depth=1
	s_or_b32 exec_lo, exec_lo, s73
	s_and_saveexec_b32 s73, s12
	s_cbranch_execnz .LBB18_78
.LBB18_46:                              ;   in Loop: Header=BB18_33 Depth=1
	s_or_b32 exec_lo, exec_lo, s73
	s_and_saveexec_b32 s73, s13
	s_cbranch_execnz .LBB18_79
.LBB18_47:                              ;   in Loop: Header=BB18_33 Depth=1
	s_or_b32 exec_lo, exec_lo, s73
	s_and_saveexec_b32 s73, s14
	s_cbranch_execnz .LBB18_80
.LBB18_48:                              ;   in Loop: Header=BB18_33 Depth=1
	s_or_b32 exec_lo, exec_lo, s73
	s_and_saveexec_b32 s73, s15
	s_cbranch_execnz .LBB18_81
.LBB18_49:                              ;   in Loop: Header=BB18_33 Depth=1
	s_or_b32 exec_lo, exec_lo, s73
	s_and_saveexec_b32 s73, s16
	s_cbranch_execnz .LBB18_82
.LBB18_50:                              ;   in Loop: Header=BB18_33 Depth=1
	s_or_b32 exec_lo, exec_lo, s73
	s_and_saveexec_b32 s73, s17
	s_cbranch_execnz .LBB18_83
.LBB18_51:                              ;   in Loop: Header=BB18_33 Depth=1
	s_or_b32 exec_lo, exec_lo, s73
	s_and_saveexec_b32 s73, s18
	s_cbranch_execnz .LBB18_84
.LBB18_52:                              ;   in Loop: Header=BB18_33 Depth=1
	s_or_b32 exec_lo, exec_lo, s73
	s_and_saveexec_b32 s73, s19
	s_cbranch_execnz .LBB18_85
.LBB18_53:                              ;   in Loop: Header=BB18_33 Depth=1
	s_or_b32 exec_lo, exec_lo, s73
	s_and_saveexec_b32 s73, s20
	s_cbranch_execnz .LBB18_86
.LBB18_54:                              ;   in Loop: Header=BB18_33 Depth=1
	s_or_b32 exec_lo, exec_lo, s73
	s_and_saveexec_b32 s73, s21
	s_cbranch_execnz .LBB18_87
.LBB18_55:                              ;   in Loop: Header=BB18_33 Depth=1
	s_or_b32 exec_lo, exec_lo, s73
	s_and_saveexec_b32 s73, s22
	s_cbranch_execnz .LBB18_88
.LBB18_56:                              ;   in Loop: Header=BB18_33 Depth=1
	s_or_b32 exec_lo, exec_lo, s73
	s_and_saveexec_b32 s73, s23
	s_cbranch_execnz .LBB18_89
.LBB18_57:                              ;   in Loop: Header=BB18_33 Depth=1
	s_or_b32 exec_lo, exec_lo, s73
	s_and_saveexec_b32 s73, s24
	s_cbranch_execnz .LBB18_90
.LBB18_58:                              ;   in Loop: Header=BB18_33 Depth=1
	s_or_b32 exec_lo, exec_lo, s73
	s_and_saveexec_b32 s73, s25
	s_cbranch_execnz .LBB18_91
.LBB18_59:                              ;   in Loop: Header=BB18_33 Depth=1
	s_or_b32 exec_lo, exec_lo, s73
	s_and_saveexec_b32 s73, s26
	s_cbranch_execnz .LBB18_92
.LBB18_60:                              ;   in Loop: Header=BB18_33 Depth=1
	s_or_b32 exec_lo, exec_lo, s73
	s_and_saveexec_b32 s73, s27
	s_cbranch_execnz .LBB18_93
.LBB18_61:                              ;   in Loop: Header=BB18_33 Depth=1
	s_or_b32 exec_lo, exec_lo, s73
	s_and_saveexec_b32 s73, s28
	s_cbranch_execnz .LBB18_94
.LBB18_62:                              ;   in Loop: Header=BB18_33 Depth=1
	s_or_b32 exec_lo, exec_lo, s73
	s_and_saveexec_b32 s73, s29
	s_cbranch_execnz .LBB18_95
.LBB18_63:                              ;   in Loop: Header=BB18_33 Depth=1
	s_or_b32 exec_lo, exec_lo, s73
	s_and_saveexec_b32 s73, s30
	s_cbranch_execnz .LBB18_96
.LBB18_64:                              ;   in Loop: Header=BB18_33 Depth=1
	s_or_b32 exec_lo, exec_lo, s73
	s_and_saveexec_b32 s73, s31
	s_cbranch_execnz .LBB18_97
.LBB18_65:                              ;   in Loop: Header=BB18_33 Depth=1
	s_or_b32 exec_lo, exec_lo, s73
	s_and_saveexec_b32 s31, vcc_lo
	s_cbranch_execz .LBB18_32
	s_branch .LBB18_98
.LBB18_66:                              ;   in Loop: Header=BB18_33 Depth=1
	v_mov_b32_e32 v8, s40
	ds_read_b32 v8, v8
	s_waitcnt lgkmcnt(0)
	v_add_nc_u32_e32 v7, v8, v7
	s_or_b32 exec_lo, exec_lo, s73
	s_and_saveexec_b32 s73, s1
	s_cbranch_execz .LBB18_35
.LBB18_67:                              ;   in Loop: Header=BB18_33 Depth=1
	v_mov_b32_e32 v8, s41
	ds_read_b32 v8, v8
	s_waitcnt lgkmcnt(0)
	v_add_nc_u32_e32 v7, v8, v7
	s_or_b32 exec_lo, exec_lo, s73
	s_and_saveexec_b32 s73, s2
	s_cbranch_execz .LBB18_36
.LBB18_68:                              ;   in Loop: Header=BB18_33 Depth=1
	v_mov_b32_e32 v8, s43
	ds_read_b32 v8, v8
	s_waitcnt lgkmcnt(0)
	v_add_nc_u32_e32 v7, v8, v7
	s_or_b32 exec_lo, exec_lo, s73
	s_and_saveexec_b32 s73, s3
	s_cbranch_execz .LBB18_37
.LBB18_69:                              ;   in Loop: Header=BB18_33 Depth=1
	v_mov_b32_e32 v8, s44
	ds_read_b32 v8, v8
	s_waitcnt lgkmcnt(0)
	v_add_nc_u32_e32 v7, v8, v7
	s_or_b32 exec_lo, exec_lo, s73
	s_and_saveexec_b32 s73, s4
	s_cbranch_execz .LBB18_38
.LBB18_70:                              ;   in Loop: Header=BB18_33 Depth=1
	v_mov_b32_e32 v8, s45
	ds_read_b32 v8, v8
	s_waitcnt lgkmcnt(0)
	v_add_nc_u32_e32 v7, v8, v7
	s_or_b32 exec_lo, exec_lo, s73
	s_and_saveexec_b32 s73, s5
	s_cbranch_execz .LBB18_39
.LBB18_71:                              ;   in Loop: Header=BB18_33 Depth=1
	v_mov_b32_e32 v8, s46
	ds_read_b32 v8, v8
	s_waitcnt lgkmcnt(0)
	v_add_nc_u32_e32 v7, v8, v7
	s_or_b32 exec_lo, exec_lo, s73
	s_and_saveexec_b32 s73, s6
	s_cbranch_execz .LBB18_40
.LBB18_72:                              ;   in Loop: Header=BB18_33 Depth=1
	v_mov_b32_e32 v8, s47
	ds_read_b32 v8, v8
	s_waitcnt lgkmcnt(0)
	v_add_nc_u32_e32 v7, v8, v7
	s_or_b32 exec_lo, exec_lo, s73
	s_and_saveexec_b32 s73, s7
	s_cbranch_execz .LBB18_41
.LBB18_73:                              ;   in Loop: Header=BB18_33 Depth=1
	v_mov_b32_e32 v8, s48
	ds_read_b32 v8, v8
	s_waitcnt lgkmcnt(0)
	v_add_nc_u32_e32 v7, v8, v7
	s_or_b32 exec_lo, exec_lo, s73
	s_and_saveexec_b32 s73, s8
	s_cbranch_execz .LBB18_42
.LBB18_74:                              ;   in Loop: Header=BB18_33 Depth=1
	v_mov_b32_e32 v8, s49
	ds_read_b32 v8, v8
	s_waitcnt lgkmcnt(0)
	v_add_nc_u32_e32 v7, v8, v7
	s_or_b32 exec_lo, exec_lo, s73
	s_and_saveexec_b32 s73, s9
	s_cbranch_execz .LBB18_43
.LBB18_75:                              ;   in Loop: Header=BB18_33 Depth=1
	v_mov_b32_e32 v8, s50
	ds_read_b32 v8, v8
	s_waitcnt lgkmcnt(0)
	v_add_nc_u32_e32 v7, v8, v7
	s_or_b32 exec_lo, exec_lo, s73
	s_and_saveexec_b32 s73, s10
	s_cbranch_execz .LBB18_44
.LBB18_76:                              ;   in Loop: Header=BB18_33 Depth=1
	v_mov_b32_e32 v8, s51
	ds_read_b32 v8, v8
	s_waitcnt lgkmcnt(0)
	v_add_nc_u32_e32 v7, v8, v7
	s_or_b32 exec_lo, exec_lo, s73
	s_and_saveexec_b32 s73, s11
	s_cbranch_execz .LBB18_45
.LBB18_77:                              ;   in Loop: Header=BB18_33 Depth=1
	v_mov_b32_e32 v8, s52
	ds_read_b32 v8, v8
	s_waitcnt lgkmcnt(0)
	v_add_nc_u32_e32 v7, v8, v7
	s_or_b32 exec_lo, exec_lo, s73
	s_and_saveexec_b32 s73, s12
	s_cbranch_execz .LBB18_46
.LBB18_78:                              ;   in Loop: Header=BB18_33 Depth=1
	v_mov_b32_e32 v8, s53
	ds_read_b32 v8, v8
	s_waitcnt lgkmcnt(0)
	v_add_nc_u32_e32 v7, v8, v7
	s_or_b32 exec_lo, exec_lo, s73
	s_and_saveexec_b32 s73, s13
	s_cbranch_execz .LBB18_47
.LBB18_79:                              ;   in Loop: Header=BB18_33 Depth=1
	v_mov_b32_e32 v8, s54
	ds_read_b32 v8, v8
	s_waitcnt lgkmcnt(0)
	v_add_nc_u32_e32 v7, v8, v7
	s_or_b32 exec_lo, exec_lo, s73
	s_and_saveexec_b32 s73, s14
	s_cbranch_execz .LBB18_48
.LBB18_80:                              ;   in Loop: Header=BB18_33 Depth=1
	v_mov_b32_e32 v8, s55
	ds_read_b32 v8, v8
	s_waitcnt lgkmcnt(0)
	v_add_nc_u32_e32 v7, v8, v7
	s_or_b32 exec_lo, exec_lo, s73
	s_and_saveexec_b32 s73, s15
	s_cbranch_execz .LBB18_49
.LBB18_81:                              ;   in Loop: Header=BB18_33 Depth=1
	v_mov_b32_e32 v8, s56
	ds_read_b32 v8, v8
	s_waitcnt lgkmcnt(0)
	v_add_nc_u32_e32 v7, v8, v7
	s_or_b32 exec_lo, exec_lo, s73
	s_and_saveexec_b32 s73, s16
	s_cbranch_execz .LBB18_50
.LBB18_82:                              ;   in Loop: Header=BB18_33 Depth=1
	v_mov_b32_e32 v8, s57
	ds_read_b32 v8, v8
	s_waitcnt lgkmcnt(0)
	v_add_nc_u32_e32 v7, v8, v7
	s_or_b32 exec_lo, exec_lo, s73
	s_and_saveexec_b32 s73, s17
	s_cbranch_execz .LBB18_51
.LBB18_83:                              ;   in Loop: Header=BB18_33 Depth=1
	v_mov_b32_e32 v8, s58
	ds_read_b32 v8, v8
	s_waitcnt lgkmcnt(0)
	v_add_nc_u32_e32 v7, v8, v7
	s_or_b32 exec_lo, exec_lo, s73
	s_and_saveexec_b32 s73, s18
	s_cbranch_execz .LBB18_52
.LBB18_84:                              ;   in Loop: Header=BB18_33 Depth=1
	v_mov_b32_e32 v8, s59
	ds_read_b32 v8, v8
	s_waitcnt lgkmcnt(0)
	v_add_nc_u32_e32 v7, v8, v7
	s_or_b32 exec_lo, exec_lo, s73
	s_and_saveexec_b32 s73, s19
	s_cbranch_execz .LBB18_53
.LBB18_85:                              ;   in Loop: Header=BB18_33 Depth=1
	v_mov_b32_e32 v8, s60
	ds_read_b32 v8, v8
	s_waitcnt lgkmcnt(0)
	v_add_nc_u32_e32 v7, v8, v7
	s_or_b32 exec_lo, exec_lo, s73
	s_and_saveexec_b32 s73, s20
	s_cbranch_execz .LBB18_54
.LBB18_86:                              ;   in Loop: Header=BB18_33 Depth=1
	v_mov_b32_e32 v8, s61
	ds_read_b32 v8, v8
	s_waitcnt lgkmcnt(0)
	v_add_nc_u32_e32 v7, v8, v7
	s_or_b32 exec_lo, exec_lo, s73
	s_and_saveexec_b32 s73, s21
	s_cbranch_execz .LBB18_55
.LBB18_87:                              ;   in Loop: Header=BB18_33 Depth=1
	v_mov_b32_e32 v8, s62
	ds_read_b32 v8, v8
	s_waitcnt lgkmcnt(0)
	v_add_nc_u32_e32 v7, v8, v7
	s_or_b32 exec_lo, exec_lo, s73
	s_and_saveexec_b32 s73, s22
	s_cbranch_execz .LBB18_56
.LBB18_88:                              ;   in Loop: Header=BB18_33 Depth=1
	v_mov_b32_e32 v8, s63
	ds_read_b32 v8, v8
	s_waitcnt lgkmcnt(0)
	v_add_nc_u32_e32 v7, v8, v7
	s_or_b32 exec_lo, exec_lo, s73
	s_and_saveexec_b32 s73, s23
	s_cbranch_execz .LBB18_57
.LBB18_89:                              ;   in Loop: Header=BB18_33 Depth=1
	v_mov_b32_e32 v8, s64
	ds_read_b32 v8, v8
	s_waitcnt lgkmcnt(0)
	v_add_nc_u32_e32 v7, v8, v7
	s_or_b32 exec_lo, exec_lo, s73
	s_and_saveexec_b32 s73, s24
	s_cbranch_execz .LBB18_58
.LBB18_90:                              ;   in Loop: Header=BB18_33 Depth=1
	v_mov_b32_e32 v8, s65
	ds_read_b32 v8, v8
	s_waitcnt lgkmcnt(0)
	v_add_nc_u32_e32 v7, v8, v7
	s_or_b32 exec_lo, exec_lo, s73
	s_and_saveexec_b32 s73, s25
	s_cbranch_execz .LBB18_59
.LBB18_91:                              ;   in Loop: Header=BB18_33 Depth=1
	v_mov_b32_e32 v8, s66
	ds_read_b32 v8, v8
	s_waitcnt lgkmcnt(0)
	v_add_nc_u32_e32 v7, v8, v7
	s_or_b32 exec_lo, exec_lo, s73
	s_and_saveexec_b32 s73, s26
	s_cbranch_execz .LBB18_60
.LBB18_92:                              ;   in Loop: Header=BB18_33 Depth=1
	v_mov_b32_e32 v8, s67
	ds_read_b32 v8, v8
	s_waitcnt lgkmcnt(0)
	v_add_nc_u32_e32 v7, v8, v7
	s_or_b32 exec_lo, exec_lo, s73
	s_and_saveexec_b32 s73, s27
	s_cbranch_execz .LBB18_61
.LBB18_93:                              ;   in Loop: Header=BB18_33 Depth=1
	v_mov_b32_e32 v8, s68
	ds_read_b32 v8, v8
	s_waitcnt lgkmcnt(0)
	v_add_nc_u32_e32 v7, v8, v7
	s_or_b32 exec_lo, exec_lo, s73
	s_and_saveexec_b32 s73, s28
	s_cbranch_execz .LBB18_62
.LBB18_94:                              ;   in Loop: Header=BB18_33 Depth=1
	v_mov_b32_e32 v8, s69
	ds_read_b32 v8, v8
	s_waitcnt lgkmcnt(0)
	v_add_nc_u32_e32 v7, v8, v7
	s_or_b32 exec_lo, exec_lo, s73
	s_and_saveexec_b32 s73, s29
	s_cbranch_execz .LBB18_63
.LBB18_95:                              ;   in Loop: Header=BB18_33 Depth=1
	v_mov_b32_e32 v8, s70
	ds_read_b32 v8, v8
	s_waitcnt lgkmcnt(0)
	v_add_nc_u32_e32 v7, v8, v7
	s_or_b32 exec_lo, exec_lo, s73
	s_and_saveexec_b32 s73, s30
	s_cbranch_execz .LBB18_64
.LBB18_96:                              ;   in Loop: Header=BB18_33 Depth=1
	v_mov_b32_e32 v8, s71
	ds_read_b32 v8, v8
	s_waitcnt lgkmcnt(0)
	v_add_nc_u32_e32 v7, v8, v7
	s_or_b32 exec_lo, exec_lo, s73
	s_and_saveexec_b32 s73, s31
	s_cbranch_execz .LBB18_65
.LBB18_97:                              ;   in Loop: Header=BB18_33 Depth=1
	v_lshlrev_b32_e32 v8, 2, v1
	v_lshlrev_b32_e32 v9, 2, v7
	v_add_nc_u32_e32 v8, 0, v8
	v_add3_u32 v8, v8, v9, -4
	ds_write_b32 v8, v6
	s_or_b32 exec_lo, exec_lo, s73
	s_and_saveexec_b32 s31, vcc_lo
	s_cbranch_execz .LBB18_32
.LBB18_98:                              ;   in Loop: Header=BB18_33 Depth=1
	v_mov_b32_e32 v6, s72
	ds_write_b32 v6, v7
	s_branch .LBB18_32
.LBB18_99:
	s_or_b32 exec_lo, exec_lo, s35
	s_ashr_i32 s35, s34, 31
	s_mov_b32 s3, exec_lo
	s_lshl_b64 s[0:1], s[34:35], 2
	s_add_u32 s0, s36, s0
	s_addc_u32 s1, s37, s1
	s_load_dwordx2 s[0:1], s[0:1], 0x0
	s_waitcnt lgkmcnt(0)
	s_sub_i32 s2, s1, s0
	v_cmpx_gt_i32_e64 s2, v0
	s_cbranch_execz .LBB18_109
; %bb.100:
	s_sub_i32 s3, s0, s42
	s_sub_i32 s0, s0, s1
	s_and_b32 s1, s2, 7
	s_cmp_lt_u32 s0, -7
	s_mov_b32 s7, 0
	s_cselect_b32 s4, -1, 0
	s_and_b32 s5, s2, -8
	s_cmp_lg_u32 s1, 0
	s_cselect_b32 s6, -1, 0
	s_branch .LBB18_102
.LBB18_101:                             ;   in Loop: Header=BB18_102 Depth=1
	v_ashrrev_i32_e32 v2, 31, v1
	v_add_nc_u32_e32 v0, 0x400, v0
	s_waitcnt lgkmcnt(0)
	v_add_nc_u32_e32 v3, s42, v3
	v_lshlrev_b64 v[1:2], 2, v[1:2]
	v_cmp_le_i32_e32 vcc_lo, s2, v0
	s_or_b32 s7, vcc_lo, s7
	v_add_co_u32 v1, s0, s38, v1
	v_add_co_ci_u32_e64 v2, null, s39, v2, s0
	global_store_dword v[1:2], v3, off
	s_andn2_b32 exec_lo, exec_lo, s7
	s_cbranch_execz .LBB18_109
.LBB18_102:                             ; =>This Loop Header: Depth=1
                                        ;     Child Loop BB18_104 Depth 2
                                        ;     Child Loop BB18_108 Depth 2
	v_lshl_add_u32 v1, v0, 2, 0
	s_andn2_b32 vcc_lo, exec_lo, s4
	s_mov_b32 s0, 0
	ds_read_b32 v3, v1
	v_mov_b32_e32 v1, s3
	s_cbranch_vccnz .LBB18_106
; %bb.103:                              ;   in Loop: Header=BB18_102 Depth=1
	v_mov_b32_e32 v1, s3
	s_mov_b32 s8, 0
	s_inst_prefetch 0x1
	.p2align	6
.LBB18_104:                             ;   Parent Loop BB18_102 Depth=1
                                        ; =>  This Inner Loop Header: Depth=2
	v_mov_b32_e32 v2, s8
	s_add_i32 s0, s0, 8
	s_add_i32 s8, s8, 32
	s_cmp_eq_u32 s5, s0
	ds_read2_b32 v[4:5], v2 offset1:1
	ds_read2_b32 v[6:7], v2 offset0:2 offset1:3
	ds_read2_b32 v[8:9], v2 offset0:4 offset1:5
	;; [unrolled: 1-line block ×3, first 2 shown]
	s_waitcnt lgkmcnt(3)
	v_cmp_gt_i32_e32 vcc_lo, v3, v4
	v_cndmask_b32_e64 v2, 0, 1, vcc_lo
	s_waitcnt lgkmcnt(2)
	v_cmp_gt_i32_e32 vcc_lo, v3, v6
	v_cndmask_b32_e64 v4, 0, 1, vcc_lo
	v_cmp_gt_i32_e32 vcc_lo, v3, v5
	v_add_co_ci_u32_e64 v1, null, v1, v2, vcc_lo
	s_waitcnt lgkmcnt(1)
	v_cmp_gt_i32_e32 vcc_lo, v3, v8
	v_cndmask_b32_e64 v2, 0, 1, vcc_lo
	v_cmp_gt_i32_e32 vcc_lo, v3, v7
	v_add_co_ci_u32_e64 v1, null, v1, v4, vcc_lo
	;; [unrolled: 5-line block ×3, first 2 shown]
	v_cmp_gt_i32_e32 vcc_lo, v3, v11
	v_add_co_ci_u32_e64 v1, null, v1, v4, vcc_lo
	s_cbranch_scc0 .LBB18_104
; %bb.105:                              ;   in Loop: Header=BB18_102 Depth=1
	s_inst_prefetch 0x2
	s_mov_b32 s0, s5
.LBB18_106:                             ;   in Loop: Header=BB18_102 Depth=1
	s_andn2_b32 vcc_lo, exec_lo, s6
	s_cbranch_vccnz .LBB18_101
; %bb.107:                              ;   in Loop: Header=BB18_102 Depth=1
	s_lshl_b32 s0, s0, 2
	s_mov_b32 s8, s1
	s_add_i32 s0, s0, 0
.LBB18_108:                             ;   Parent Loop BB18_102 Depth=1
                                        ; =>  This Inner Loop Header: Depth=2
	v_mov_b32_e32 v2, s0
	s_add_i32 s8, s8, -1
	s_add_i32 s0, s0, 4
	s_cmp_lg_u32 s8, 0
	ds_read_b32 v2, v2
	s_waitcnt lgkmcnt(0)
	v_cmp_gt_i32_e32 vcc_lo, v3, v2
	v_add_co_ci_u32_e64 v1, null, 0, v1, vcc_lo
	s_cbranch_scc1 .LBB18_108
	s_branch .LBB18_101
.LBB18_109:
	s_endpgm
	.section	.rodata,"a",@progbits
	.p2align	6, 0x0
	.amdhsa_kernel _ZN9rocsparseL35csrgemm_symbolic_fill_block_per_rowILj1024ELj64ELj16384ELj137ELj32EiiEEvT5_PKS1_S3_PKT4_S3_S6_S3_S6_S3_S6_PS1_21rocsparse_index_base_S8_S8_S8_bb
		.amdhsa_group_segment_fixed_size 0
		.amdhsa_private_segment_fixed_size 0
		.amdhsa_kernarg_size 108
		.amdhsa_user_sgpr_count 6
		.amdhsa_user_sgpr_private_segment_buffer 1
		.amdhsa_user_sgpr_dispatch_ptr 0
		.amdhsa_user_sgpr_queue_ptr 0
		.amdhsa_user_sgpr_kernarg_segment_ptr 1
		.amdhsa_user_sgpr_dispatch_id 0
		.amdhsa_user_sgpr_flat_scratch_init 0
		.amdhsa_user_sgpr_private_segment_size 0
		.amdhsa_wavefront_size32 1
		.amdhsa_uses_dynamic_stack 0
		.amdhsa_system_sgpr_private_segment_wavefront_offset 0
		.amdhsa_system_sgpr_workgroup_id_x 1
		.amdhsa_system_sgpr_workgroup_id_y 0
		.amdhsa_system_sgpr_workgroup_id_z 0
		.amdhsa_system_sgpr_workgroup_info 0
		.amdhsa_system_vgpr_workitem_id 0
		.amdhsa_next_free_vgpr 12
		.amdhsa_next_free_sgpr 74
		.amdhsa_reserve_vcc 1
		.amdhsa_reserve_flat_scratch 0
		.amdhsa_float_round_mode_32 0
		.amdhsa_float_round_mode_16_64 0
		.amdhsa_float_denorm_mode_32 3
		.amdhsa_float_denorm_mode_16_64 3
		.amdhsa_dx10_clamp 1
		.amdhsa_ieee_mode 1
		.amdhsa_fp16_overflow 0
		.amdhsa_workgroup_processor_mode 1
		.amdhsa_memory_ordered 1
		.amdhsa_forward_progress 1
		.amdhsa_shared_vgpr_count 0
		.amdhsa_exception_fp_ieee_invalid_op 0
		.amdhsa_exception_fp_denorm_src 0
		.amdhsa_exception_fp_ieee_div_zero 0
		.amdhsa_exception_fp_ieee_overflow 0
		.amdhsa_exception_fp_ieee_underflow 0
		.amdhsa_exception_fp_ieee_inexact 0
		.amdhsa_exception_int_div_zero 0
	.end_amdhsa_kernel
	.section	.text._ZN9rocsparseL35csrgemm_symbolic_fill_block_per_rowILj1024ELj64ELj16384ELj137ELj32EiiEEvT5_PKS1_S3_PKT4_S3_S6_S3_S6_S3_S6_PS1_21rocsparse_index_base_S8_S8_S8_bb,"axG",@progbits,_ZN9rocsparseL35csrgemm_symbolic_fill_block_per_rowILj1024ELj64ELj16384ELj137ELj32EiiEEvT5_PKS1_S3_PKT4_S3_S6_S3_S6_S3_S6_PS1_21rocsparse_index_base_S8_S8_S8_bb,comdat
.Lfunc_end18:
	.size	_ZN9rocsparseL35csrgemm_symbolic_fill_block_per_rowILj1024ELj64ELj16384ELj137ELj32EiiEEvT5_PKS1_S3_PKT4_S3_S6_S3_S6_S3_S6_PS1_21rocsparse_index_base_S8_S8_S8_bb, .Lfunc_end18-_ZN9rocsparseL35csrgemm_symbolic_fill_block_per_rowILj1024ELj64ELj16384ELj137ELj32EiiEEvT5_PKS1_S3_PKT4_S3_S6_S3_S6_S3_S6_PS1_21rocsparse_index_base_S8_S8_S8_bb
                                        ; -- End function
	.set _ZN9rocsparseL35csrgemm_symbolic_fill_block_per_rowILj1024ELj64ELj16384ELj137ELj32EiiEEvT5_PKS1_S3_PKT4_S3_S6_S3_S6_S3_S6_PS1_21rocsparse_index_base_S8_S8_S8_bb.num_vgpr, 12
	.set _ZN9rocsparseL35csrgemm_symbolic_fill_block_per_rowILj1024ELj64ELj16384ELj137ELj32EiiEEvT5_PKS1_S3_PKT4_S3_S6_S3_S6_S3_S6_PS1_21rocsparse_index_base_S8_S8_S8_bb.num_agpr, 0
	.set _ZN9rocsparseL35csrgemm_symbolic_fill_block_per_rowILj1024ELj64ELj16384ELj137ELj32EiiEEvT5_PKS1_S3_PKT4_S3_S6_S3_S6_S3_S6_PS1_21rocsparse_index_base_S8_S8_S8_bb.numbered_sgpr, 74
	.set _ZN9rocsparseL35csrgemm_symbolic_fill_block_per_rowILj1024ELj64ELj16384ELj137ELj32EiiEEvT5_PKS1_S3_PKT4_S3_S6_S3_S6_S3_S6_PS1_21rocsparse_index_base_S8_S8_S8_bb.num_named_barrier, 0
	.set _ZN9rocsparseL35csrgemm_symbolic_fill_block_per_rowILj1024ELj64ELj16384ELj137ELj32EiiEEvT5_PKS1_S3_PKT4_S3_S6_S3_S6_S3_S6_PS1_21rocsparse_index_base_S8_S8_S8_bb.private_seg_size, 0
	.set _ZN9rocsparseL35csrgemm_symbolic_fill_block_per_rowILj1024ELj64ELj16384ELj137ELj32EiiEEvT5_PKS1_S3_PKT4_S3_S6_S3_S6_S3_S6_PS1_21rocsparse_index_base_S8_S8_S8_bb.uses_vcc, 1
	.set _ZN9rocsparseL35csrgemm_symbolic_fill_block_per_rowILj1024ELj64ELj16384ELj137ELj32EiiEEvT5_PKS1_S3_PKT4_S3_S6_S3_S6_S3_S6_PS1_21rocsparse_index_base_S8_S8_S8_bb.uses_flat_scratch, 0
	.set _ZN9rocsparseL35csrgemm_symbolic_fill_block_per_rowILj1024ELj64ELj16384ELj137ELj32EiiEEvT5_PKS1_S3_PKT4_S3_S6_S3_S6_S3_S6_PS1_21rocsparse_index_base_S8_S8_S8_bb.has_dyn_sized_stack, 0
	.set _ZN9rocsparseL35csrgemm_symbolic_fill_block_per_rowILj1024ELj64ELj16384ELj137ELj32EiiEEvT5_PKS1_S3_PKT4_S3_S6_S3_S6_S3_S6_PS1_21rocsparse_index_base_S8_S8_S8_bb.has_recursion, 0
	.set _ZN9rocsparseL35csrgemm_symbolic_fill_block_per_rowILj1024ELj64ELj16384ELj137ELj32EiiEEvT5_PKS1_S3_PKT4_S3_S6_S3_S6_S3_S6_PS1_21rocsparse_index_base_S8_S8_S8_bb.has_indirect_call, 0
	.section	.AMDGPU.csdata,"",@progbits
; Kernel info:
; codeLenInByte = 3892
; TotalNumSgprs: 76
; NumVgprs: 12
; ScratchSize: 0
; MemoryBound: 0
; FloatMode: 240
; IeeeMode: 1
; LDSByteSize: 0 bytes/workgroup (compile time only)
; SGPRBlocks: 0
; VGPRBlocks: 1
; NumSGPRsForWavesPerEU: 76
; NumVGPRsForWavesPerEU: 12
; Occupancy: 16
; WaveLimiterHint : 1
; COMPUTE_PGM_RSRC2:SCRATCH_EN: 0
; COMPUTE_PGM_RSRC2:USER_SGPR: 6
; COMPUTE_PGM_RSRC2:TRAP_HANDLER: 0
; COMPUTE_PGM_RSRC2:TGID_X_EN: 1
; COMPUTE_PGM_RSRC2:TGID_Y_EN: 0
; COMPUTE_PGM_RSRC2:TGID_Z_EN: 0
; COMPUTE_PGM_RSRC2:TIDIG_COMP_CNT: 0
	.section	.text._ZN9rocsparseL35csrgemm_symbolic_fill_block_per_rowILj1024ELj64ELj16384ELj137ELj64EiiEEvT5_PKS1_S3_PKT4_S3_S6_S3_S6_S3_S6_PS1_21rocsparse_index_base_S8_S8_S8_bb,"axG",@progbits,_ZN9rocsparseL35csrgemm_symbolic_fill_block_per_rowILj1024ELj64ELj16384ELj137ELj64EiiEEvT5_PKS1_S3_PKT4_S3_S6_S3_S6_S3_S6_PS1_21rocsparse_index_base_S8_S8_S8_bb,comdat
	.globl	_ZN9rocsparseL35csrgemm_symbolic_fill_block_per_rowILj1024ELj64ELj16384ELj137ELj64EiiEEvT5_PKS1_S3_PKT4_S3_S6_S3_S6_S3_S6_PS1_21rocsparse_index_base_S8_S8_S8_bb ; -- Begin function _ZN9rocsparseL35csrgemm_symbolic_fill_block_per_rowILj1024ELj64ELj16384ELj137ELj64EiiEEvT5_PKS1_S3_PKT4_S3_S6_S3_S6_S3_S6_PS1_21rocsparse_index_base_S8_S8_S8_bb
	.p2align	8
	.type	_ZN9rocsparseL35csrgemm_symbolic_fill_block_per_rowILj1024ELj64ELj16384ELj137ELj64EiiEEvT5_PKS1_S3_PKT4_S3_S6_S3_S6_S3_S6_PS1_21rocsparse_index_base_S8_S8_S8_bb,@function
_ZN9rocsparseL35csrgemm_symbolic_fill_block_per_rowILj1024ELj64ELj16384ELj137ELj64EiiEEvT5_PKS1_S3_PKT4_S3_S6_S3_S6_S3_S6_PS1_21rocsparse_index_base_S8_S8_S8_bb: ; @_ZN9rocsparseL35csrgemm_symbolic_fill_block_per_rowILj1024ELj64ELj16384ELj137ELj64EiiEEvT5_PKS1_S3_PKT4_S3_S6_S3_S6_S3_S6_PS1_21rocsparse_index_base_S8_S8_S8_bb
; %bb.0:
	s_clause 0x3
	s_load_dword s30, s[4:5], 0x0
	s_load_dwordx4 s[24:27], s[4:5], 0x48
	s_load_dwordx8 s[8:15], s[4:5], 0x28
	s_load_dwordx8 s[16:23], s[4:5], 0x8
	v_lshl_add_u32 v4, v0, 2, 0
	v_or_b32_e32 v5, 0xfffffc00, v0
	s_mov_b32 s0, 0
	v_mov_b32_e32 v1, v4
	v_mov_b32_e32 v3, v5
	s_waitcnt lgkmcnt(0)
	v_mov_b32_e32 v2, s30
.LBB19_1:                               ; =>This Inner Loop Header: Depth=1
	v_add_nc_u32_e32 v3, 0x400, v3
	ds_write_b32 v1, v2
	v_add_nc_u32_e32 v1, 0x1000, v1
	v_cmp_lt_u32_e32 vcc_lo, 0x3bff, v3
	s_or_b32 s0, vcc_lo, s0
	s_andn2_b32 exec_lo, exec_lo, s0
	s_cbranch_execnz .LBB19_1
; %bb.2:
	s_or_b32 exec_lo, exec_lo, s0
	s_load_dword s0, s[4:5], 0x68
	s_waitcnt lgkmcnt(0)
	s_barrier
	buffer_gl0_inv
	s_load_dword s1, s[16:17], 0x0
	s_mov_b32 s3, 0
	v_lshrrev_b32_e32 v6, 6, v0
	s_bitcmp1_b32 s0, 0
	s_cselect_b32 s7, -1, 0
	s_waitcnt lgkmcnt(0)
	s_add_i32 s2, s1, s6
	s_lshl_b64 s[2:3], s[2:3], 2
	s_add_u32 s2, s18, s2
	s_addc_u32 s3, s19, s3
	s_load_dwordx4 s[16:19], s[4:5], 0x58
	s_load_dword s28, s[2:3], 0x0
	s_and_b32 vcc_lo, exec_lo, s7
	s_cbranch_vccz .LBB19_18
; %bb.3:
	s_waitcnt lgkmcnt(0)
	s_ashr_i32 s29, s28, 31
	v_subrev_nc_u32_e32 v1, s16, v6
	s_lshl_b64 s[2:3], s[28:29], 2
	s_add_u32 s2, s20, s2
	s_addc_u32 s3, s21, s3
	s_load_dwordx2 s[2:3], s[2:3], 0x0
	s_waitcnt lgkmcnt(0)
	v_add_nc_u32_e32 v1, s2, v1
	s_sub_i32 s1, s3, s16
	s_mov_b32 s2, exec_lo
	v_cmpx_gt_i32_e64 s1, v1
	s_cbranch_execz .LBB19_17
; %bb.4:
	v_and_b32_e32 v2, 63, v0
	s_mov_b32 s3, 0
	v_subrev_nc_u32_e32 v7, s17, v2
	s_branch .LBB19_6
.LBB19_5:                               ;   in Loop: Header=BB19_6 Depth=1
	s_or_b32 exec_lo, exec_lo, s4
	v_add_nc_u32_e32 v1, 16, v1
	v_cmp_le_i32_e32 vcc_lo, s1, v1
	s_or_b32 s3, vcc_lo, s3
	s_andn2_b32 exec_lo, exec_lo, s3
	s_cbranch_execz .LBB19_17
.LBB19_6:                               ; =>This Loop Header: Depth=1
                                        ;     Child Loop BB19_9 Depth 2
                                        ;       Child Loop BB19_12 Depth 3
	v_ashrrev_i32_e32 v2, 31, v1
	s_mov_b32 s4, exec_lo
	v_lshlrev_b64 v[2:3], 2, v[1:2]
	v_add_co_u32 v2, vcc_lo, s22, v2
	v_add_co_ci_u32_e64 v3, null, s23, v3, vcc_lo
	global_load_dword v2, v[2:3], off
	s_waitcnt vmcnt(0)
	v_subrev_nc_u32_e32 v2, s16, v2
	v_ashrrev_i32_e32 v3, 31, v2
	v_lshlrev_b64 v[2:3], 2, v[2:3]
	v_add_co_u32 v2, vcc_lo, s8, v2
	v_add_co_ci_u32_e64 v3, null, s9, v3, vcc_lo
	global_load_dwordx2 v[2:3], v[2:3], off
	s_waitcnt vmcnt(0)
	v_subrev_nc_u32_e32 v8, s17, v3
	v_add_nc_u32_e32 v2, v2, v7
	v_cmpx_lt_i32_e64 v2, v8
	s_cbranch_execz .LBB19_5
; %bb.7:                                ;   in Loop: Header=BB19_6 Depth=1
	s_mov_b32 s5, 0
	s_branch .LBB19_9
.LBB19_8:                               ;   in Loop: Header=BB19_9 Depth=2
	s_inst_prefetch 0x2
	s_or_b32 exec_lo, exec_lo, s6
	v_add_nc_u32_e32 v2, 64, v2
	v_cmp_ge_i32_e32 vcc_lo, v2, v8
	s_or_b32 s5, vcc_lo, s5
	s_andn2_b32 exec_lo, exec_lo, s5
	s_cbranch_execz .LBB19_5
.LBB19_9:                               ;   Parent Loop BB19_6 Depth=1
                                        ; =>  This Loop Header: Depth=2
                                        ;       Child Loop BB19_12 Depth 3
	v_ashrrev_i32_e32 v3, 31, v2
	s_mov_b32 s6, 0
                                        ; implicit-def: $sgpr7
	v_lshlrev_b64 v[9:10], 2, v[2:3]
	v_add_co_u32 v9, vcc_lo, s10, v9
	v_add_co_ci_u32_e64 v10, null, s11, v10, vcc_lo
	global_load_dword v3, v[9:10], off
	s_waitcnt vmcnt(0)
	v_subrev_nc_u32_e32 v3, s17, v3
	v_mul_lo_u32 v9, 0x89, v3
	v_and_b32_e32 v9, 0x3fff, v9
	s_inst_prefetch 0x1
	s_branch .LBB19_12
	.p2align	6
.LBB19_10:                              ;   in Loop: Header=BB19_12 Depth=3
	s_or_b32 exec_lo, exec_lo, s21
	s_andn2_b32 s7, s7, exec_lo
	s_and_b32 s21, s29, exec_lo
	s_or_b32 s7, s7, s21
.LBB19_11:                              ;   in Loop: Header=BB19_12 Depth=3
	s_or_b32 exec_lo, exec_lo, s20
	s_xor_b32 s20, s7, -1
	s_and_b32 s20, exec_lo, s20
	s_or_b32 s6, s20, s6
	s_andn2_b32 exec_lo, exec_lo, s6
	s_cbranch_execz .LBB19_8
.LBB19_12:                              ;   Parent Loop BB19_6 Depth=1
                                        ;     Parent Loop BB19_9 Depth=2
                                        ; =>    This Inner Loop Header: Depth=3
	v_lshl_add_u32 v10, v9, 2, 0
	s_andn2_b32 s7, s7, exec_lo
	s_mov_b32 s20, exec_lo
	ds_read_b32 v11, v10
	s_waitcnt lgkmcnt(0)
	v_cmpx_ne_u32_e64 v11, v3
	s_cbranch_execz .LBB19_11
; %bb.13:                               ;   in Loop: Header=BB19_12 Depth=3
	s_mov_b32 s21, exec_lo
	v_cmpx_ne_u32_e64 s30, v11
	s_xor_b32 s21, exec_lo, s21
; %bb.14:                               ;   in Loop: Header=BB19_12 Depth=3
	v_add_nc_u32_e32 v9, 1, v9
                                        ; implicit-def: $vgpr10
	v_and_b32_e32 v9, 0x3fff, v9
; %bb.15:                               ;   in Loop: Header=BB19_12 Depth=3
	s_or_saveexec_b32 s21, s21
	s_mov_b32 s29, -1
	s_xor_b32 exec_lo, exec_lo, s21
	s_cbranch_execz .LBB19_10
; %bb.16:                               ;   in Loop: Header=BB19_12 Depth=3
	v_mov_b32_e32 v11, s30
	ds_cmpst_rtn_b32 v10, v10, v11, v3
	s_waitcnt lgkmcnt(0)
	v_cmp_ne_u32_e32 vcc_lo, s30, v10
	s_orn2_b32 s29, vcc_lo, exec_lo
	s_branch .LBB19_10
.LBB19_17:
	s_or_b32 exec_lo, exec_lo, s2
.LBB19_18:
	s_bfe_u32 s0, s0, 0x10008
	s_cmp_eq_u32 s0, 0
	s_cbranch_scc1 .LBB19_31
; %bb.19:
	s_waitcnt lgkmcnt(0)
	s_ashr_i32 s29, s28, 31
	v_subrev_nc_u32_e32 v1, s19, v0
	s_lshl_b64 s[0:1], s[28:29], 2
	s_add_u32 s0, s12, s0
	s_addc_u32 s1, s13, s1
	s_load_dwordx2 s[0:1], s[0:1], 0x0
	s_waitcnt lgkmcnt(0)
	v_add_nc_u32_e32 v1, s0, v1
	s_sub_i32 s0, s1, s19
	s_mov_b32 s1, exec_lo
	v_cmpx_gt_i32_e64 s0, v1
	s_cbranch_execz .LBB19_30
; %bb.20:
	s_mov_b32 s2, 0
	s_branch .LBB19_22
.LBB19_21:                              ;   in Loop: Header=BB19_22 Depth=1
	s_inst_prefetch 0x2
	s_or_b32 exec_lo, exec_lo, s3
	v_add_nc_u32_e32 v1, 0x400, v1
	v_cmp_le_i32_e32 vcc_lo, s0, v1
	s_or_b32 s2, vcc_lo, s2
	s_andn2_b32 exec_lo, exec_lo, s2
	s_cbranch_execz .LBB19_30
.LBB19_22:                              ; =>This Loop Header: Depth=1
                                        ;     Child Loop BB19_25 Depth 2
	v_ashrrev_i32_e32 v2, 31, v1
	s_mov_b32 s3, 0
                                        ; implicit-def: $sgpr4
	v_lshlrev_b64 v[2:3], 2, v[1:2]
	v_add_co_u32 v2, vcc_lo, s14, v2
	v_add_co_ci_u32_e64 v3, null, s15, v3, vcc_lo
	global_load_dword v2, v[2:3], off
	s_waitcnt vmcnt(0)
	v_subrev_nc_u32_e32 v2, s19, v2
	v_mul_lo_u32 v3, 0x89, v2
	v_and_b32_e32 v3, 0x3fff, v3
	s_inst_prefetch 0x1
	s_branch .LBB19_25
	.p2align	6
.LBB19_23:                              ;   in Loop: Header=BB19_25 Depth=2
	s_or_b32 exec_lo, exec_lo, s6
	s_andn2_b32 s4, s4, exec_lo
	s_and_b32 s6, s7, exec_lo
	s_or_b32 s4, s4, s6
.LBB19_24:                              ;   in Loop: Header=BB19_25 Depth=2
	s_or_b32 exec_lo, exec_lo, s5
	s_xor_b32 s5, s4, -1
	s_and_b32 s5, exec_lo, s5
	s_or_b32 s3, s5, s3
	s_andn2_b32 exec_lo, exec_lo, s3
	s_cbranch_execz .LBB19_21
.LBB19_25:                              ;   Parent Loop BB19_22 Depth=1
                                        ; =>  This Inner Loop Header: Depth=2
	v_lshl_add_u32 v7, v3, 2, 0
	s_andn2_b32 s4, s4, exec_lo
	s_mov_b32 s5, exec_lo
	ds_read_b32 v8, v7
	s_waitcnt lgkmcnt(0)
	v_cmpx_ne_u32_e64 v8, v2
	s_cbranch_execz .LBB19_24
; %bb.26:                               ;   in Loop: Header=BB19_25 Depth=2
	s_mov_b32 s6, exec_lo
	v_cmpx_ne_u32_e64 s30, v8
	s_xor_b32 s6, exec_lo, s6
; %bb.27:                               ;   in Loop: Header=BB19_25 Depth=2
	v_add_nc_u32_e32 v3, 1, v3
                                        ; implicit-def: $vgpr7
	v_and_b32_e32 v3, 0x3fff, v3
; %bb.28:                               ;   in Loop: Header=BB19_25 Depth=2
	s_or_saveexec_b32 s6, s6
	s_mov_b32 s7, -1
	s_xor_b32 exec_lo, exec_lo, s6
	s_cbranch_execz .LBB19_23
; %bb.29:                               ;   in Loop: Header=BB19_25 Depth=2
	v_mov_b32_e32 v8, s30
	ds_cmpst_rtn_b32 v7, v7, v8, v2
	s_waitcnt lgkmcnt(0)
	v_cmp_ne_u32_e32 vcc_lo, s30, v7
	s_orn2_b32 s7, vcc_lo, exec_lo
	s_branch .LBB19_23
.LBB19_30:
	s_or_b32 exec_lo, exec_lo, s1
.LBB19_31:
	v_mbcnt_lo_u32_b32 v1, -1, 0
	v_lshlrev_b32_e32 v2, 2, v6
	s_add_i32 s36, 0, 0x1003c
	v_cmp_lt_u32_e64 s0, 63, v0
	v_cmp_lt_u32_e64 s1, 0x7f, v0
	v_xor_b32_e32 v3, 31, v1
	v_mov_b32_e32 v1, 0
	v_add3_u32 v2, 0x10000, 0, v2
	v_cmp_lt_u32_e64 s2, 0xbf, v0
	v_cmp_lt_u32_e64 s3, 0xff, v0
	v_lshrrev_b32_e64 v3, v3, -1
	v_cmp_lt_u32_e64 s4, 0x13f, v0
	v_cmp_lt_u32_e64 s5, 0x17f, v0
	;; [unrolled: 1-line block ×11, first 2 shown]
	v_mov_b32_e32 v6, s36
	s_waitcnt lgkmcnt(0)
	s_mov_b32 s16, 0
	s_add_i32 s17, 0, 0x10000
	s_add_i32 s19, 0, 0x10004
	;; [unrolled: 1-line block ×15, first 2 shown]
	s_barrier
	v_cmp_eq_u32_e32 vcc_lo, 0x3ff, v0
	buffer_gl0_inv
	s_branch .LBB19_33
.LBB19_32:                              ;   in Loop: Header=BB19_33 Depth=1
	s_or_b32 exec_lo, exec_lo, s15
	s_waitcnt lgkmcnt(0)
	s_barrier
	buffer_gl0_inv
	ds_read_b32 v7, v6
	v_add_nc_u32_e32 v5, 0x400, v5
	v_add_nc_u32_e32 v4, 0x1000, v4
	v_cmp_lt_u32_e64 s15, 0x3bff, v5
	s_or_b32 s16, s15, s16
	s_waitcnt lgkmcnt(0)
	v_add_nc_u32_e32 v1, v7, v1
	s_andn2_b32 exec_lo, exec_lo, s16
	s_cbranch_execz .LBB19_67
.LBB19_33:                              ; =>This Inner Loop Header: Depth=1
	ds_read_b32 v7, v4
	s_waitcnt lgkmcnt(0)
	s_barrier
	buffer_gl0_inv
	v_cmp_gt_i32_e64 s15, s30, v7
	v_and_b32_e32 v8, s15, v3
	s_bcnt1_i32_b32 s41, s15
	v_mov_b32_e32 v9, s41
	v_bcnt_u32_b32 v8, v8, 0
	ds_write_b32 v2, v9
	s_waitcnt lgkmcnt(0)
	s_barrier
	buffer_gl0_inv
	s_and_saveexec_b32 s41, s0
	s_cbranch_execnz .LBB19_50
; %bb.34:                               ;   in Loop: Header=BB19_33 Depth=1
	s_or_b32 exec_lo, exec_lo, s41
	s_and_saveexec_b32 s41, s1
	s_cbranch_execnz .LBB19_51
.LBB19_35:                              ;   in Loop: Header=BB19_33 Depth=1
	s_or_b32 exec_lo, exec_lo, s41
	s_and_saveexec_b32 s41, s2
	s_cbranch_execnz .LBB19_52
.LBB19_36:                              ;   in Loop: Header=BB19_33 Depth=1
	s_or_b32 exec_lo, exec_lo, s41
	s_and_saveexec_b32 s41, s3
	s_cbranch_execnz .LBB19_53
.LBB19_37:                              ;   in Loop: Header=BB19_33 Depth=1
	s_or_b32 exec_lo, exec_lo, s41
	s_and_saveexec_b32 s41, s4
	s_cbranch_execnz .LBB19_54
.LBB19_38:                              ;   in Loop: Header=BB19_33 Depth=1
	s_or_b32 exec_lo, exec_lo, s41
	s_and_saveexec_b32 s41, s5
	s_cbranch_execnz .LBB19_55
.LBB19_39:                              ;   in Loop: Header=BB19_33 Depth=1
	s_or_b32 exec_lo, exec_lo, s41
	s_and_saveexec_b32 s41, s6
	s_cbranch_execnz .LBB19_56
.LBB19_40:                              ;   in Loop: Header=BB19_33 Depth=1
	s_or_b32 exec_lo, exec_lo, s41
	s_and_saveexec_b32 s41, s7
	s_cbranch_execnz .LBB19_57
.LBB19_41:                              ;   in Loop: Header=BB19_33 Depth=1
	s_or_b32 exec_lo, exec_lo, s41
	s_and_saveexec_b32 s41, s8
	s_cbranch_execnz .LBB19_58
.LBB19_42:                              ;   in Loop: Header=BB19_33 Depth=1
	s_or_b32 exec_lo, exec_lo, s41
	s_and_saveexec_b32 s41, s9
	s_cbranch_execnz .LBB19_59
.LBB19_43:                              ;   in Loop: Header=BB19_33 Depth=1
	s_or_b32 exec_lo, exec_lo, s41
	s_and_saveexec_b32 s41, s10
	s_cbranch_execnz .LBB19_60
.LBB19_44:                              ;   in Loop: Header=BB19_33 Depth=1
	s_or_b32 exec_lo, exec_lo, s41
	s_and_saveexec_b32 s41, s11
	s_cbranch_execnz .LBB19_61
.LBB19_45:                              ;   in Loop: Header=BB19_33 Depth=1
	s_or_b32 exec_lo, exec_lo, s41
	s_and_saveexec_b32 s41, s12
	s_cbranch_execnz .LBB19_62
.LBB19_46:                              ;   in Loop: Header=BB19_33 Depth=1
	s_or_b32 exec_lo, exec_lo, s41
	s_and_saveexec_b32 s41, s13
	s_cbranch_execnz .LBB19_63
.LBB19_47:                              ;   in Loop: Header=BB19_33 Depth=1
	s_or_b32 exec_lo, exec_lo, s41
	s_and_saveexec_b32 s41, s14
	s_cbranch_execnz .LBB19_64
.LBB19_48:                              ;   in Loop: Header=BB19_33 Depth=1
	s_or_b32 exec_lo, exec_lo, s41
	s_and_saveexec_b32 s41, s15
	s_cbranch_execnz .LBB19_65
.LBB19_49:                              ;   in Loop: Header=BB19_33 Depth=1
	s_or_b32 exec_lo, exec_lo, s41
	s_and_saveexec_b32 s15, vcc_lo
	s_cbranch_execz .LBB19_32
	s_branch .LBB19_66
.LBB19_50:                              ;   in Loop: Header=BB19_33 Depth=1
	v_mov_b32_e32 v9, s17
	ds_read_b32 v9, v9
	s_waitcnt lgkmcnt(0)
	v_add_nc_u32_e32 v8, v9, v8
	s_or_b32 exec_lo, exec_lo, s41
	s_and_saveexec_b32 s41, s1
	s_cbranch_execz .LBB19_35
.LBB19_51:                              ;   in Loop: Header=BB19_33 Depth=1
	v_mov_b32_e32 v9, s19
	ds_read_b32 v9, v9
	s_waitcnt lgkmcnt(0)
	v_add_nc_u32_e32 v8, v9, v8
	s_or_b32 exec_lo, exec_lo, s41
	s_and_saveexec_b32 s41, s2
	s_cbranch_execz .LBB19_36
.LBB19_52:                              ;   in Loop: Header=BB19_33 Depth=1
	v_mov_b32_e32 v9, s20
	ds_read_b32 v9, v9
	s_waitcnt lgkmcnt(0)
	v_add_nc_u32_e32 v8, v9, v8
	s_or_b32 exec_lo, exec_lo, s41
	s_and_saveexec_b32 s41, s3
	s_cbranch_execz .LBB19_37
.LBB19_53:                              ;   in Loop: Header=BB19_33 Depth=1
	v_mov_b32_e32 v9, s21
	ds_read_b32 v9, v9
	s_waitcnt lgkmcnt(0)
	v_add_nc_u32_e32 v8, v9, v8
	s_or_b32 exec_lo, exec_lo, s41
	s_and_saveexec_b32 s41, s4
	s_cbranch_execz .LBB19_38
.LBB19_54:                              ;   in Loop: Header=BB19_33 Depth=1
	v_mov_b32_e32 v9, s22
	ds_read_b32 v9, v9
	s_waitcnt lgkmcnt(0)
	v_add_nc_u32_e32 v8, v9, v8
	s_or_b32 exec_lo, exec_lo, s41
	s_and_saveexec_b32 s41, s5
	s_cbranch_execz .LBB19_39
.LBB19_55:                              ;   in Loop: Header=BB19_33 Depth=1
	v_mov_b32_e32 v9, s23
	ds_read_b32 v9, v9
	s_waitcnt lgkmcnt(0)
	v_add_nc_u32_e32 v8, v9, v8
	s_or_b32 exec_lo, exec_lo, s41
	s_and_saveexec_b32 s41, s6
	s_cbranch_execz .LBB19_40
.LBB19_56:                              ;   in Loop: Header=BB19_33 Depth=1
	v_mov_b32_e32 v9, s29
	ds_read_b32 v9, v9
	s_waitcnt lgkmcnt(0)
	v_add_nc_u32_e32 v8, v9, v8
	s_or_b32 exec_lo, exec_lo, s41
	s_and_saveexec_b32 s41, s7
	s_cbranch_execz .LBB19_41
.LBB19_57:                              ;   in Loop: Header=BB19_33 Depth=1
	v_mov_b32_e32 v9, s31
	ds_read_b32 v9, v9
	s_waitcnt lgkmcnt(0)
	v_add_nc_u32_e32 v8, v9, v8
	s_or_b32 exec_lo, exec_lo, s41
	s_and_saveexec_b32 s41, s8
	s_cbranch_execz .LBB19_42
.LBB19_58:                              ;   in Loop: Header=BB19_33 Depth=1
	v_mov_b32_e32 v9, s33
	ds_read_b32 v9, v9
	s_waitcnt lgkmcnt(0)
	v_add_nc_u32_e32 v8, v9, v8
	s_or_b32 exec_lo, exec_lo, s41
	s_and_saveexec_b32 s41, s9
	s_cbranch_execz .LBB19_43
.LBB19_59:                              ;   in Loop: Header=BB19_33 Depth=1
	v_mov_b32_e32 v9, s34
	ds_read_b32 v9, v9
	s_waitcnt lgkmcnt(0)
	v_add_nc_u32_e32 v8, v9, v8
	s_or_b32 exec_lo, exec_lo, s41
	s_and_saveexec_b32 s41, s10
	s_cbranch_execz .LBB19_44
.LBB19_60:                              ;   in Loop: Header=BB19_33 Depth=1
	v_mov_b32_e32 v9, s35
	ds_read_b32 v9, v9
	s_waitcnt lgkmcnt(0)
	v_add_nc_u32_e32 v8, v9, v8
	s_or_b32 exec_lo, exec_lo, s41
	s_and_saveexec_b32 s41, s11
	s_cbranch_execz .LBB19_45
.LBB19_61:                              ;   in Loop: Header=BB19_33 Depth=1
	v_mov_b32_e32 v9, s37
	ds_read_b32 v9, v9
	s_waitcnt lgkmcnt(0)
	v_add_nc_u32_e32 v8, v9, v8
	s_or_b32 exec_lo, exec_lo, s41
	s_and_saveexec_b32 s41, s12
	s_cbranch_execz .LBB19_46
.LBB19_62:                              ;   in Loop: Header=BB19_33 Depth=1
	v_mov_b32_e32 v9, s38
	ds_read_b32 v9, v9
	s_waitcnt lgkmcnt(0)
	v_add_nc_u32_e32 v8, v9, v8
	s_or_b32 exec_lo, exec_lo, s41
	s_and_saveexec_b32 s41, s13
	s_cbranch_execz .LBB19_47
.LBB19_63:                              ;   in Loop: Header=BB19_33 Depth=1
	v_mov_b32_e32 v9, s39
	ds_read_b32 v9, v9
	s_waitcnt lgkmcnt(0)
	v_add_nc_u32_e32 v8, v9, v8
	s_or_b32 exec_lo, exec_lo, s41
	s_and_saveexec_b32 s41, s14
	s_cbranch_execz .LBB19_48
.LBB19_64:                              ;   in Loop: Header=BB19_33 Depth=1
	v_mov_b32_e32 v9, s40
	ds_read_b32 v9, v9
	s_waitcnt lgkmcnt(0)
	v_add_nc_u32_e32 v8, v9, v8
	s_or_b32 exec_lo, exec_lo, s41
	s_and_saveexec_b32 s41, s15
	s_cbranch_execz .LBB19_49
.LBB19_65:                              ;   in Loop: Header=BB19_33 Depth=1
	v_lshlrev_b32_e32 v9, 2, v1
	v_lshlrev_b32_e32 v10, 2, v8
	v_add_nc_u32_e32 v9, 0, v9
	v_add3_u32 v9, v9, v10, -4
	ds_write_b32 v9, v7
	s_or_b32 exec_lo, exec_lo, s41
	s_and_saveexec_b32 s15, vcc_lo
	s_cbranch_execz .LBB19_32
.LBB19_66:                              ;   in Loop: Header=BB19_33 Depth=1
	v_mov_b32_e32 v7, s36
	ds_write_b32 v7, v8
	s_branch .LBB19_32
.LBB19_67:
	s_or_b32 exec_lo, exec_lo, s16
	s_ashr_i32 s29, s28, 31
	s_mov_b32 s3, exec_lo
	s_lshl_b64 s[0:1], s[28:29], 2
	s_add_u32 s0, s24, s0
	s_addc_u32 s1, s25, s1
	s_load_dwordx2 s[0:1], s[0:1], 0x0
	s_waitcnt lgkmcnt(0)
	s_sub_i32 s2, s1, s0
	v_cmpx_gt_i32_e64 s2, v0
	s_cbranch_execz .LBB19_77
; %bb.68:
	s_sub_i32 s3, s0, s18
	s_sub_i32 s0, s0, s1
	s_and_b32 s1, s2, 7
	s_cmp_lt_u32 s0, -7
	s_mov_b32 s7, 0
	s_cselect_b32 s4, -1, 0
	s_and_b32 s5, s2, -8
	s_cmp_lg_u32 s1, 0
	s_cselect_b32 s6, -1, 0
	s_branch .LBB19_70
.LBB19_69:                              ;   in Loop: Header=BB19_70 Depth=1
	v_ashrrev_i32_e32 v2, 31, v1
	v_add_nc_u32_e32 v0, 0x400, v0
	s_waitcnt lgkmcnt(0)
	v_add_nc_u32_e32 v3, s18, v3
	v_lshlrev_b64 v[1:2], 2, v[1:2]
	v_cmp_le_i32_e32 vcc_lo, s2, v0
	s_or_b32 s7, vcc_lo, s7
	v_add_co_u32 v1, s0, s26, v1
	v_add_co_ci_u32_e64 v2, null, s27, v2, s0
	global_store_dword v[1:2], v3, off
	s_andn2_b32 exec_lo, exec_lo, s7
	s_cbranch_execz .LBB19_77
.LBB19_70:                              ; =>This Loop Header: Depth=1
                                        ;     Child Loop BB19_72 Depth 2
                                        ;     Child Loop BB19_76 Depth 2
	v_lshl_add_u32 v1, v0, 2, 0
	s_andn2_b32 vcc_lo, exec_lo, s4
	s_mov_b32 s0, 0
	ds_read_b32 v3, v1
	v_mov_b32_e32 v1, s3
	s_cbranch_vccnz .LBB19_74
; %bb.71:                               ;   in Loop: Header=BB19_70 Depth=1
	v_mov_b32_e32 v1, s3
	s_mov_b32 s8, 0
	s_inst_prefetch 0x1
	.p2align	6
.LBB19_72:                              ;   Parent Loop BB19_70 Depth=1
                                        ; =>  This Inner Loop Header: Depth=2
	v_mov_b32_e32 v2, s8
	s_add_i32 s0, s0, 8
	s_add_i32 s8, s8, 32
	s_cmp_eq_u32 s5, s0
	ds_read2_b32 v[4:5], v2 offset1:1
	ds_read2_b32 v[6:7], v2 offset0:2 offset1:3
	ds_read2_b32 v[8:9], v2 offset0:4 offset1:5
	;; [unrolled: 1-line block ×3, first 2 shown]
	s_waitcnt lgkmcnt(3)
	v_cmp_gt_i32_e32 vcc_lo, v3, v4
	v_cndmask_b32_e64 v2, 0, 1, vcc_lo
	s_waitcnt lgkmcnt(2)
	v_cmp_gt_i32_e32 vcc_lo, v3, v6
	v_cndmask_b32_e64 v4, 0, 1, vcc_lo
	v_cmp_gt_i32_e32 vcc_lo, v3, v5
	v_add_co_ci_u32_e64 v1, null, v1, v2, vcc_lo
	s_waitcnt lgkmcnt(1)
	v_cmp_gt_i32_e32 vcc_lo, v3, v8
	v_cndmask_b32_e64 v2, 0, 1, vcc_lo
	v_cmp_gt_i32_e32 vcc_lo, v3, v7
	v_add_co_ci_u32_e64 v1, null, v1, v4, vcc_lo
	;; [unrolled: 5-line block ×3, first 2 shown]
	v_cmp_gt_i32_e32 vcc_lo, v3, v11
	v_add_co_ci_u32_e64 v1, null, v1, v4, vcc_lo
	s_cbranch_scc0 .LBB19_72
; %bb.73:                               ;   in Loop: Header=BB19_70 Depth=1
	s_inst_prefetch 0x2
	s_mov_b32 s0, s5
.LBB19_74:                              ;   in Loop: Header=BB19_70 Depth=1
	s_andn2_b32 vcc_lo, exec_lo, s6
	s_cbranch_vccnz .LBB19_69
; %bb.75:                               ;   in Loop: Header=BB19_70 Depth=1
	s_lshl_b32 s0, s0, 2
	s_mov_b32 s8, s1
	s_add_i32 s0, s0, 0
.LBB19_76:                              ;   Parent Loop BB19_70 Depth=1
                                        ; =>  This Inner Loop Header: Depth=2
	v_mov_b32_e32 v2, s0
	s_add_i32 s8, s8, -1
	s_add_i32 s0, s0, 4
	s_cmp_lg_u32 s8, 0
	ds_read_b32 v2, v2
	s_waitcnt lgkmcnt(0)
	v_cmp_gt_i32_e32 vcc_lo, v3, v2
	v_add_co_ci_u32_e64 v1, null, 0, v1, vcc_lo
	s_cbranch_scc1 .LBB19_76
	s_branch .LBB19_69
.LBB19_77:
	s_endpgm
	.section	.rodata,"a",@progbits
	.p2align	6, 0x0
	.amdhsa_kernel _ZN9rocsparseL35csrgemm_symbolic_fill_block_per_rowILj1024ELj64ELj16384ELj137ELj64EiiEEvT5_PKS1_S3_PKT4_S3_S6_S3_S6_S3_S6_PS1_21rocsparse_index_base_S8_S8_S8_bb
		.amdhsa_group_segment_fixed_size 0
		.amdhsa_private_segment_fixed_size 0
		.amdhsa_kernarg_size 108
		.amdhsa_user_sgpr_count 6
		.amdhsa_user_sgpr_private_segment_buffer 1
		.amdhsa_user_sgpr_dispatch_ptr 0
		.amdhsa_user_sgpr_queue_ptr 0
		.amdhsa_user_sgpr_kernarg_segment_ptr 1
		.amdhsa_user_sgpr_dispatch_id 0
		.amdhsa_user_sgpr_flat_scratch_init 0
		.amdhsa_user_sgpr_private_segment_size 0
		.amdhsa_wavefront_size32 1
		.amdhsa_uses_dynamic_stack 0
		.amdhsa_system_sgpr_private_segment_wavefront_offset 0
		.amdhsa_system_sgpr_workgroup_id_x 1
		.amdhsa_system_sgpr_workgroup_id_y 0
		.amdhsa_system_sgpr_workgroup_id_z 0
		.amdhsa_system_sgpr_workgroup_info 0
		.amdhsa_system_vgpr_workitem_id 0
		.amdhsa_next_free_vgpr 12
		.amdhsa_next_free_sgpr 42
		.amdhsa_reserve_vcc 1
		.amdhsa_reserve_flat_scratch 0
		.amdhsa_float_round_mode_32 0
		.amdhsa_float_round_mode_16_64 0
		.amdhsa_float_denorm_mode_32 3
		.amdhsa_float_denorm_mode_16_64 3
		.amdhsa_dx10_clamp 1
		.amdhsa_ieee_mode 1
		.amdhsa_fp16_overflow 0
		.amdhsa_workgroup_processor_mode 1
		.amdhsa_memory_ordered 1
		.amdhsa_forward_progress 1
		.amdhsa_shared_vgpr_count 0
		.amdhsa_exception_fp_ieee_invalid_op 0
		.amdhsa_exception_fp_denorm_src 0
		.amdhsa_exception_fp_ieee_div_zero 0
		.amdhsa_exception_fp_ieee_overflow 0
		.amdhsa_exception_fp_ieee_underflow 0
		.amdhsa_exception_fp_ieee_inexact 0
		.amdhsa_exception_int_div_zero 0
	.end_amdhsa_kernel
	.section	.text._ZN9rocsparseL35csrgemm_symbolic_fill_block_per_rowILj1024ELj64ELj16384ELj137ELj64EiiEEvT5_PKS1_S3_PKT4_S3_S6_S3_S6_S3_S6_PS1_21rocsparse_index_base_S8_S8_S8_bb,"axG",@progbits,_ZN9rocsparseL35csrgemm_symbolic_fill_block_per_rowILj1024ELj64ELj16384ELj137ELj64EiiEEvT5_PKS1_S3_PKT4_S3_S6_S3_S6_S3_S6_PS1_21rocsparse_index_base_S8_S8_S8_bb,comdat
.Lfunc_end19:
	.size	_ZN9rocsparseL35csrgemm_symbolic_fill_block_per_rowILj1024ELj64ELj16384ELj137ELj64EiiEEvT5_PKS1_S3_PKT4_S3_S6_S3_S6_S3_S6_PS1_21rocsparse_index_base_S8_S8_S8_bb, .Lfunc_end19-_ZN9rocsparseL35csrgemm_symbolic_fill_block_per_rowILj1024ELj64ELj16384ELj137ELj64EiiEEvT5_PKS1_S3_PKT4_S3_S6_S3_S6_S3_S6_PS1_21rocsparse_index_base_S8_S8_S8_bb
                                        ; -- End function
	.set _ZN9rocsparseL35csrgemm_symbolic_fill_block_per_rowILj1024ELj64ELj16384ELj137ELj64EiiEEvT5_PKS1_S3_PKT4_S3_S6_S3_S6_S3_S6_PS1_21rocsparse_index_base_S8_S8_S8_bb.num_vgpr, 12
	.set _ZN9rocsparseL35csrgemm_symbolic_fill_block_per_rowILj1024ELj64ELj16384ELj137ELj64EiiEEvT5_PKS1_S3_PKT4_S3_S6_S3_S6_S3_S6_PS1_21rocsparse_index_base_S8_S8_S8_bb.num_agpr, 0
	.set _ZN9rocsparseL35csrgemm_symbolic_fill_block_per_rowILj1024ELj64ELj16384ELj137ELj64EiiEEvT5_PKS1_S3_PKT4_S3_S6_S3_S6_S3_S6_PS1_21rocsparse_index_base_S8_S8_S8_bb.numbered_sgpr, 42
	.set _ZN9rocsparseL35csrgemm_symbolic_fill_block_per_rowILj1024ELj64ELj16384ELj137ELj64EiiEEvT5_PKS1_S3_PKT4_S3_S6_S3_S6_S3_S6_PS1_21rocsparse_index_base_S8_S8_S8_bb.num_named_barrier, 0
	.set _ZN9rocsparseL35csrgemm_symbolic_fill_block_per_rowILj1024ELj64ELj16384ELj137ELj64EiiEEvT5_PKS1_S3_PKT4_S3_S6_S3_S6_S3_S6_PS1_21rocsparse_index_base_S8_S8_S8_bb.private_seg_size, 0
	.set _ZN9rocsparseL35csrgemm_symbolic_fill_block_per_rowILj1024ELj64ELj16384ELj137ELj64EiiEEvT5_PKS1_S3_PKT4_S3_S6_S3_S6_S3_S6_PS1_21rocsparse_index_base_S8_S8_S8_bb.uses_vcc, 1
	.set _ZN9rocsparseL35csrgemm_symbolic_fill_block_per_rowILj1024ELj64ELj16384ELj137ELj64EiiEEvT5_PKS1_S3_PKT4_S3_S6_S3_S6_S3_S6_PS1_21rocsparse_index_base_S8_S8_S8_bb.uses_flat_scratch, 0
	.set _ZN9rocsparseL35csrgemm_symbolic_fill_block_per_rowILj1024ELj64ELj16384ELj137ELj64EiiEEvT5_PKS1_S3_PKT4_S3_S6_S3_S6_S3_S6_PS1_21rocsparse_index_base_S8_S8_S8_bb.has_dyn_sized_stack, 0
	.set _ZN9rocsparseL35csrgemm_symbolic_fill_block_per_rowILj1024ELj64ELj16384ELj137ELj64EiiEEvT5_PKS1_S3_PKT4_S3_S6_S3_S6_S3_S6_PS1_21rocsparse_index_base_S8_S8_S8_bb.has_recursion, 0
	.set _ZN9rocsparseL35csrgemm_symbolic_fill_block_per_rowILj1024ELj64ELj16384ELj137ELj64EiiEEvT5_PKS1_S3_PKT4_S3_S6_S3_S6_S3_S6_PS1_21rocsparse_index_base_S8_S8_S8_bb.has_indirect_call, 0
	.section	.AMDGPU.csdata,"",@progbits
; Kernel info:
; codeLenInByte = 2868
; TotalNumSgprs: 44
; NumVgprs: 12
; ScratchSize: 0
; MemoryBound: 0
; FloatMode: 240
; IeeeMode: 1
; LDSByteSize: 0 bytes/workgroup (compile time only)
; SGPRBlocks: 0
; VGPRBlocks: 1
; NumSGPRsForWavesPerEU: 44
; NumVGPRsForWavesPerEU: 12
; Occupancy: 16
; WaveLimiterHint : 1
; COMPUTE_PGM_RSRC2:SCRATCH_EN: 0
; COMPUTE_PGM_RSRC2:USER_SGPR: 6
; COMPUTE_PGM_RSRC2:TRAP_HANDLER: 0
; COMPUTE_PGM_RSRC2:TGID_X_EN: 1
; COMPUTE_PGM_RSRC2:TGID_Y_EN: 0
; COMPUTE_PGM_RSRC2:TGID_Z_EN: 0
; COMPUTE_PGM_RSRC2:TIDIG_COMP_CNT: 0
	.section	.text._ZN9rocsparseL35csrgemm_symbolic_fill_block_per_rowILj1024ELj64ELj32768ELj137ELj32EiiEEvT5_PKS1_S3_PKT4_S3_S6_S3_S6_S3_S6_PS1_21rocsparse_index_base_S8_S8_S8_bb,"axG",@progbits,_ZN9rocsparseL35csrgemm_symbolic_fill_block_per_rowILj1024ELj64ELj32768ELj137ELj32EiiEEvT5_PKS1_S3_PKT4_S3_S6_S3_S6_S3_S6_PS1_21rocsparse_index_base_S8_S8_S8_bb,comdat
	.globl	_ZN9rocsparseL35csrgemm_symbolic_fill_block_per_rowILj1024ELj64ELj32768ELj137ELj32EiiEEvT5_PKS1_S3_PKT4_S3_S6_S3_S6_S3_S6_PS1_21rocsparse_index_base_S8_S8_S8_bb ; -- Begin function _ZN9rocsparseL35csrgemm_symbolic_fill_block_per_rowILj1024ELj64ELj32768ELj137ELj32EiiEEvT5_PKS1_S3_PKT4_S3_S6_S3_S6_S3_S6_PS1_21rocsparse_index_base_S8_S8_S8_bb
	.p2align	8
	.type	_ZN9rocsparseL35csrgemm_symbolic_fill_block_per_rowILj1024ELj64ELj32768ELj137ELj32EiiEEvT5_PKS1_S3_PKT4_S3_S6_S3_S6_S3_S6_PS1_21rocsparse_index_base_S8_S8_S8_bb,@function
_ZN9rocsparseL35csrgemm_symbolic_fill_block_per_rowILj1024ELj64ELj32768ELj137ELj32EiiEEvT5_PKS1_S3_PKT4_S3_S6_S3_S6_S3_S6_PS1_21rocsparse_index_base_S8_S8_S8_bb: ; @_ZN9rocsparseL35csrgemm_symbolic_fill_block_per_rowILj1024ELj64ELj32768ELj137ELj32EiiEEvT5_PKS1_S3_PKT4_S3_S6_S3_S6_S3_S6_PS1_21rocsparse_index_base_S8_S8_S8_bb
; %bb.0:
	s_clause 0x3
	s_load_dword s33, s[4:5], 0x0
	s_load_dwordx4 s[36:39], s[4:5], 0x48
	s_load_dwordx8 s[8:15], s[4:5], 0x28
	s_load_dwordx8 s[16:23], s[4:5], 0x8
	v_lshl_add_u32 v4, v0, 2, 0
	v_or_b32_e32 v5, 0xfffffc00, v0
	s_mov_b32 s0, 0
	v_mov_b32_e32 v1, v4
	v_mov_b32_e32 v3, v5
	s_waitcnt lgkmcnt(0)
	v_mov_b32_e32 v2, s33
.LBB20_1:                               ; =>This Inner Loop Header: Depth=1
	v_add_nc_u32_e32 v3, 0x400, v3
	ds_write_b32 v1, v2
	v_add_nc_u32_e32 v1, 0x1000, v1
	v_cmp_lt_u32_e32 vcc_lo, 0x7bff, v3
	s_or_b32 s0, vcc_lo, s0
	s_andn2_b32 exec_lo, exec_lo, s0
	s_cbranch_execnz .LBB20_1
; %bb.2:
	s_or_b32 exec_lo, exec_lo, s0
	s_load_dword s0, s[4:5], 0x68
	s_waitcnt lgkmcnt(0)
	s_barrier
	buffer_gl0_inv
	s_load_dword s1, s[16:17], 0x0
	s_mov_b32 s3, 0
	s_bitcmp1_b32 s0, 0
	s_cselect_b32 s7, -1, 0
	s_waitcnt lgkmcnt(0)
	s_add_i32 s2, s1, s6
	s_lshl_b64 s[2:3], s[2:3], 2
	s_add_u32 s2, s18, s2
	s_addc_u32 s3, s19, s3
	s_load_dwordx4 s[40:43], s[4:5], 0x58
	s_load_dword s34, s[2:3], 0x0
	s_and_b32 vcc_lo, exec_lo, s7
	s_cbranch_vccz .LBB20_18
; %bb.3:
	s_waitcnt lgkmcnt(0)
	s_ashr_i32 s35, s34, 31
	v_lshrrev_b32_e32 v1, 6, v0
	s_lshl_b64 s[2:3], s[34:35], 2
	s_add_u32 s2, s20, s2
	s_addc_u32 s3, s21, s3
	v_subrev_nc_u32_e32 v1, s40, v1
	s_load_dwordx2 s[2:3], s[2:3], 0x0
	s_waitcnt lgkmcnt(0)
	v_add_nc_u32_e32 v1, s2, v1
	s_sub_i32 s1, s3, s40
	s_mov_b32 s2, exec_lo
	v_cmpx_gt_i32_e64 s1, v1
	s_cbranch_execz .LBB20_17
; %bb.4:
	v_and_b32_e32 v2, 63, v0
	s_mov_b32 s3, 0
	v_subrev_nc_u32_e32 v6, s41, v2
	s_branch .LBB20_6
.LBB20_5:                               ;   in Loop: Header=BB20_6 Depth=1
	s_or_b32 exec_lo, exec_lo, s4
	v_add_nc_u32_e32 v1, 16, v1
	v_cmp_le_i32_e32 vcc_lo, s1, v1
	s_or_b32 s3, vcc_lo, s3
	s_andn2_b32 exec_lo, exec_lo, s3
	s_cbranch_execz .LBB20_17
.LBB20_6:                               ; =>This Loop Header: Depth=1
                                        ;     Child Loop BB20_9 Depth 2
                                        ;       Child Loop BB20_12 Depth 3
	v_ashrrev_i32_e32 v2, 31, v1
	s_mov_b32 s4, exec_lo
	v_lshlrev_b64 v[2:3], 2, v[1:2]
	v_add_co_u32 v2, vcc_lo, s22, v2
	v_add_co_ci_u32_e64 v3, null, s23, v3, vcc_lo
	global_load_dword v2, v[2:3], off
	s_waitcnt vmcnt(0)
	v_subrev_nc_u32_e32 v2, s40, v2
	v_ashrrev_i32_e32 v3, 31, v2
	v_lshlrev_b64 v[2:3], 2, v[2:3]
	v_add_co_u32 v2, vcc_lo, s8, v2
	v_add_co_ci_u32_e64 v3, null, s9, v3, vcc_lo
	global_load_dwordx2 v[2:3], v[2:3], off
	s_waitcnt vmcnt(0)
	v_subrev_nc_u32_e32 v7, s41, v3
	v_add_nc_u32_e32 v2, v2, v6
	v_cmpx_lt_i32_e64 v2, v7
	s_cbranch_execz .LBB20_5
; %bb.7:                                ;   in Loop: Header=BB20_6 Depth=1
	s_mov_b32 s5, 0
	s_branch .LBB20_9
.LBB20_8:                               ;   in Loop: Header=BB20_9 Depth=2
	s_inst_prefetch 0x2
	s_or_b32 exec_lo, exec_lo, s6
	v_add_nc_u32_e32 v2, 64, v2
	v_cmp_ge_i32_e32 vcc_lo, v2, v7
	s_or_b32 s5, vcc_lo, s5
	s_andn2_b32 exec_lo, exec_lo, s5
	s_cbranch_execz .LBB20_5
.LBB20_9:                               ;   Parent Loop BB20_6 Depth=1
                                        ; =>  This Loop Header: Depth=2
                                        ;       Child Loop BB20_12 Depth 3
	v_ashrrev_i32_e32 v3, 31, v2
	s_mov_b32 s6, 0
                                        ; implicit-def: $sgpr7
	v_lshlrev_b64 v[8:9], 2, v[2:3]
	v_add_co_u32 v8, vcc_lo, s10, v8
	v_add_co_ci_u32_e64 v9, null, s11, v9, vcc_lo
	global_load_dword v3, v[8:9], off
	s_waitcnt vmcnt(0)
	v_subrev_nc_u32_e32 v3, s41, v3
	v_mul_lo_u32 v8, 0x89, v3
	v_and_b32_e32 v8, 0x7fff, v8
	s_inst_prefetch 0x1
	s_branch .LBB20_12
	.p2align	6
.LBB20_10:                              ;   in Loop: Header=BB20_12 Depth=3
	s_or_b32 exec_lo, exec_lo, s17
	s_andn2_b32 s7, s7, exec_lo
	s_and_b32 s17, s18, exec_lo
	s_or_b32 s7, s7, s17
.LBB20_11:                              ;   in Loop: Header=BB20_12 Depth=3
	s_or_b32 exec_lo, exec_lo, s16
	s_xor_b32 s16, s7, -1
	s_and_b32 s16, exec_lo, s16
	s_or_b32 s6, s16, s6
	s_andn2_b32 exec_lo, exec_lo, s6
	s_cbranch_execz .LBB20_8
.LBB20_12:                              ;   Parent Loop BB20_6 Depth=1
                                        ;     Parent Loop BB20_9 Depth=2
                                        ; =>    This Inner Loop Header: Depth=3
	v_lshl_add_u32 v9, v8, 2, 0
	s_andn2_b32 s7, s7, exec_lo
	s_mov_b32 s16, exec_lo
	ds_read_b32 v10, v9
	s_waitcnt lgkmcnt(0)
	v_cmpx_ne_u32_e64 v10, v3
	s_cbranch_execz .LBB20_11
; %bb.13:                               ;   in Loop: Header=BB20_12 Depth=3
	s_mov_b32 s17, exec_lo
	v_cmpx_ne_u32_e64 s33, v10
	s_xor_b32 s17, exec_lo, s17
; %bb.14:                               ;   in Loop: Header=BB20_12 Depth=3
	v_add_nc_u32_e32 v8, 1, v8
                                        ; implicit-def: $vgpr9
	v_and_b32_e32 v8, 0x7fff, v8
; %bb.15:                               ;   in Loop: Header=BB20_12 Depth=3
	s_or_saveexec_b32 s17, s17
	s_mov_b32 s18, -1
	s_xor_b32 exec_lo, exec_lo, s17
	s_cbranch_execz .LBB20_10
; %bb.16:                               ;   in Loop: Header=BB20_12 Depth=3
	v_mov_b32_e32 v10, s33
	ds_cmpst_rtn_b32 v9, v9, v10, v3
	s_waitcnt lgkmcnt(0)
	v_cmp_ne_u32_e32 vcc_lo, s33, v9
	s_orn2_b32 s18, vcc_lo, exec_lo
	s_branch .LBB20_10
.LBB20_17:
	s_or_b32 exec_lo, exec_lo, s2
.LBB20_18:
	s_bfe_u32 s0, s0, 0x10008
	s_cmp_eq_u32 s0, 0
	s_cbranch_scc1 .LBB20_31
; %bb.19:
	s_waitcnt lgkmcnt(0)
	s_ashr_i32 s35, s34, 31
	v_subrev_nc_u32_e32 v1, s43, v0
	s_lshl_b64 s[0:1], s[34:35], 2
	s_add_u32 s0, s12, s0
	s_addc_u32 s1, s13, s1
	s_load_dwordx2 s[0:1], s[0:1], 0x0
	s_waitcnt lgkmcnt(0)
	v_add_nc_u32_e32 v1, s0, v1
	s_sub_i32 s0, s1, s43
	s_mov_b32 s1, exec_lo
	v_cmpx_gt_i32_e64 s0, v1
	s_cbranch_execz .LBB20_30
; %bb.20:
	s_mov_b32 s2, 0
	s_branch .LBB20_22
.LBB20_21:                              ;   in Loop: Header=BB20_22 Depth=1
	s_inst_prefetch 0x2
	s_or_b32 exec_lo, exec_lo, s3
	v_add_nc_u32_e32 v1, 0x400, v1
	v_cmp_le_i32_e32 vcc_lo, s0, v1
	s_or_b32 s2, vcc_lo, s2
	s_andn2_b32 exec_lo, exec_lo, s2
	s_cbranch_execz .LBB20_30
.LBB20_22:                              ; =>This Loop Header: Depth=1
                                        ;     Child Loop BB20_25 Depth 2
	v_ashrrev_i32_e32 v2, 31, v1
	s_mov_b32 s3, 0
                                        ; implicit-def: $sgpr4
	v_lshlrev_b64 v[2:3], 2, v[1:2]
	v_add_co_u32 v2, vcc_lo, s14, v2
	v_add_co_ci_u32_e64 v3, null, s15, v3, vcc_lo
	global_load_dword v2, v[2:3], off
	s_waitcnt vmcnt(0)
	v_subrev_nc_u32_e32 v2, s43, v2
	v_mul_lo_u32 v3, 0x89, v2
	v_and_b32_e32 v3, 0x7fff, v3
	s_inst_prefetch 0x1
	s_branch .LBB20_25
	.p2align	6
.LBB20_23:                              ;   in Loop: Header=BB20_25 Depth=2
	s_or_b32 exec_lo, exec_lo, s6
	s_andn2_b32 s4, s4, exec_lo
	s_and_b32 s6, s7, exec_lo
	s_or_b32 s4, s4, s6
.LBB20_24:                              ;   in Loop: Header=BB20_25 Depth=2
	s_or_b32 exec_lo, exec_lo, s5
	s_xor_b32 s5, s4, -1
	s_and_b32 s5, exec_lo, s5
	s_or_b32 s3, s5, s3
	s_andn2_b32 exec_lo, exec_lo, s3
	s_cbranch_execz .LBB20_21
.LBB20_25:                              ;   Parent Loop BB20_22 Depth=1
                                        ; =>  This Inner Loop Header: Depth=2
	v_lshl_add_u32 v6, v3, 2, 0
	s_andn2_b32 s4, s4, exec_lo
	s_mov_b32 s5, exec_lo
	ds_read_b32 v7, v6
	s_waitcnt lgkmcnt(0)
	v_cmpx_ne_u32_e64 v7, v2
	s_cbranch_execz .LBB20_24
; %bb.26:                               ;   in Loop: Header=BB20_25 Depth=2
	s_mov_b32 s6, exec_lo
	v_cmpx_ne_u32_e64 s33, v7
	s_xor_b32 s6, exec_lo, s6
; %bb.27:                               ;   in Loop: Header=BB20_25 Depth=2
	v_add_nc_u32_e32 v3, 1, v3
                                        ; implicit-def: $vgpr6
	v_and_b32_e32 v3, 0x7fff, v3
; %bb.28:                               ;   in Loop: Header=BB20_25 Depth=2
	s_or_saveexec_b32 s6, s6
	s_mov_b32 s7, -1
	s_xor_b32 exec_lo, exec_lo, s6
	s_cbranch_execz .LBB20_23
; %bb.29:                               ;   in Loop: Header=BB20_25 Depth=2
	v_mov_b32_e32 v7, s33
	ds_cmpst_rtn_b32 v6, v6, v7, v2
	s_waitcnt lgkmcnt(0)
	v_cmp_ne_u32_e32 vcc_lo, s33, v6
	s_orn2_b32 s7, vcc_lo, exec_lo
	s_branch .LBB20_23
.LBB20_30:
	s_or_b32 exec_lo, exec_lo, s1
.LBB20_31:
	v_mbcnt_lo_u32_b32 v1, -1, 0
	v_lshrrev_b32_e32 v2, 3, v0
	v_cmp_lt_u32_e64 s0, 31, v0
	v_cmp_lt_u32_e64 s1, 63, v0
	;; [unrolled: 1-line block ×3, first 2 shown]
	v_xor_b32_e32 v3, 31, v1
	v_and_b32_e32 v6, 0x7c, v2
	v_mov_b32_e32 v1, 0
	v_cmp_lt_u32_e64 s3, 0x7f, v0
	v_cmp_lt_u32_e64 s4, 0x9f, v0
	v_lshrrev_b32_e64 v2, v3, -1
	v_add3_u32 v3, 0x20000, 0, v6
	v_cmp_lt_u32_e64 s5, 0xbf, v0
	v_cmp_lt_u32_e64 s6, 0xdf, v0
	;; [unrolled: 1-line block ×26, first 2 shown]
	s_mov_b32 s35, 0
	s_waitcnt lgkmcnt(0)
	s_add_i32 s40, 0, 0x20000
	s_add_i32 s41, 0, 0x20004
	;; [unrolled: 1-line block ×32, first 2 shown]
	s_barrier
	v_cmp_eq_u32_e32 vcc_lo, 0x3ff, v0
	buffer_gl0_inv
	s_branch .LBB20_33
.LBB20_32:                              ;   in Loop: Header=BB20_33 Depth=1
	s_or_b32 exec_lo, exec_lo, s31
	v_mov_b32_e32 v6, s72
	s_waitcnt lgkmcnt(0)
	s_barrier
	buffer_gl0_inv
	v_add_nc_u32_e32 v5, 0x400, v5
	ds_read_b32 v6, v6
	v_add_nc_u32_e32 v4, 0x1000, v4
	v_cmp_lt_u32_e64 s31, 0x7bff, v5
	s_or_b32 s35, s31, s35
	s_waitcnt lgkmcnt(0)
	v_add_nc_u32_e32 v1, v6, v1
	s_andn2_b32 exec_lo, exec_lo, s35
	s_cbranch_execz .LBB20_99
.LBB20_33:                              ; =>This Inner Loop Header: Depth=1
	ds_read_b32 v6, v4
	s_waitcnt lgkmcnt(0)
	s_barrier
	buffer_gl0_inv
	v_cmp_gt_i32_e64 s31, s33, v6
	v_and_b32_e32 v7, s31, v2
	s_bcnt1_i32_b32 s73, s31
	v_mov_b32_e32 v8, s73
	v_bcnt_u32_b32 v7, v7, 0
	ds_write_b32 v3, v8
	s_waitcnt lgkmcnt(0)
	s_barrier
	buffer_gl0_inv
	s_and_saveexec_b32 s73, s0
	s_cbranch_execnz .LBB20_66
; %bb.34:                               ;   in Loop: Header=BB20_33 Depth=1
	s_or_b32 exec_lo, exec_lo, s73
	s_and_saveexec_b32 s73, s1
	s_cbranch_execnz .LBB20_67
.LBB20_35:                              ;   in Loop: Header=BB20_33 Depth=1
	s_or_b32 exec_lo, exec_lo, s73
	s_and_saveexec_b32 s73, s2
	s_cbranch_execnz .LBB20_68
.LBB20_36:                              ;   in Loop: Header=BB20_33 Depth=1
	s_or_b32 exec_lo, exec_lo, s73
	s_and_saveexec_b32 s73, s3
	s_cbranch_execnz .LBB20_69
.LBB20_37:                              ;   in Loop: Header=BB20_33 Depth=1
	s_or_b32 exec_lo, exec_lo, s73
	s_and_saveexec_b32 s73, s4
	s_cbranch_execnz .LBB20_70
.LBB20_38:                              ;   in Loop: Header=BB20_33 Depth=1
	s_or_b32 exec_lo, exec_lo, s73
	s_and_saveexec_b32 s73, s5
	s_cbranch_execnz .LBB20_71
.LBB20_39:                              ;   in Loop: Header=BB20_33 Depth=1
	s_or_b32 exec_lo, exec_lo, s73
	s_and_saveexec_b32 s73, s6
	s_cbranch_execnz .LBB20_72
.LBB20_40:                              ;   in Loop: Header=BB20_33 Depth=1
	s_or_b32 exec_lo, exec_lo, s73
	s_and_saveexec_b32 s73, s7
	s_cbranch_execnz .LBB20_73
.LBB20_41:                              ;   in Loop: Header=BB20_33 Depth=1
	s_or_b32 exec_lo, exec_lo, s73
	s_and_saveexec_b32 s73, s8
	s_cbranch_execnz .LBB20_74
.LBB20_42:                              ;   in Loop: Header=BB20_33 Depth=1
	s_or_b32 exec_lo, exec_lo, s73
	s_and_saveexec_b32 s73, s9
	s_cbranch_execnz .LBB20_75
.LBB20_43:                              ;   in Loop: Header=BB20_33 Depth=1
	s_or_b32 exec_lo, exec_lo, s73
	s_and_saveexec_b32 s73, s10
	s_cbranch_execnz .LBB20_76
.LBB20_44:                              ;   in Loop: Header=BB20_33 Depth=1
	s_or_b32 exec_lo, exec_lo, s73
	s_and_saveexec_b32 s73, s11
	s_cbranch_execnz .LBB20_77
.LBB20_45:                              ;   in Loop: Header=BB20_33 Depth=1
	s_or_b32 exec_lo, exec_lo, s73
	s_and_saveexec_b32 s73, s12
	s_cbranch_execnz .LBB20_78
.LBB20_46:                              ;   in Loop: Header=BB20_33 Depth=1
	s_or_b32 exec_lo, exec_lo, s73
	s_and_saveexec_b32 s73, s13
	s_cbranch_execnz .LBB20_79
.LBB20_47:                              ;   in Loop: Header=BB20_33 Depth=1
	s_or_b32 exec_lo, exec_lo, s73
	s_and_saveexec_b32 s73, s14
	s_cbranch_execnz .LBB20_80
.LBB20_48:                              ;   in Loop: Header=BB20_33 Depth=1
	s_or_b32 exec_lo, exec_lo, s73
	s_and_saveexec_b32 s73, s15
	s_cbranch_execnz .LBB20_81
.LBB20_49:                              ;   in Loop: Header=BB20_33 Depth=1
	s_or_b32 exec_lo, exec_lo, s73
	s_and_saveexec_b32 s73, s16
	s_cbranch_execnz .LBB20_82
.LBB20_50:                              ;   in Loop: Header=BB20_33 Depth=1
	s_or_b32 exec_lo, exec_lo, s73
	s_and_saveexec_b32 s73, s17
	s_cbranch_execnz .LBB20_83
.LBB20_51:                              ;   in Loop: Header=BB20_33 Depth=1
	s_or_b32 exec_lo, exec_lo, s73
	s_and_saveexec_b32 s73, s18
	s_cbranch_execnz .LBB20_84
.LBB20_52:                              ;   in Loop: Header=BB20_33 Depth=1
	s_or_b32 exec_lo, exec_lo, s73
	s_and_saveexec_b32 s73, s19
	s_cbranch_execnz .LBB20_85
.LBB20_53:                              ;   in Loop: Header=BB20_33 Depth=1
	s_or_b32 exec_lo, exec_lo, s73
	s_and_saveexec_b32 s73, s20
	s_cbranch_execnz .LBB20_86
.LBB20_54:                              ;   in Loop: Header=BB20_33 Depth=1
	s_or_b32 exec_lo, exec_lo, s73
	s_and_saveexec_b32 s73, s21
	s_cbranch_execnz .LBB20_87
.LBB20_55:                              ;   in Loop: Header=BB20_33 Depth=1
	s_or_b32 exec_lo, exec_lo, s73
	s_and_saveexec_b32 s73, s22
	s_cbranch_execnz .LBB20_88
.LBB20_56:                              ;   in Loop: Header=BB20_33 Depth=1
	s_or_b32 exec_lo, exec_lo, s73
	s_and_saveexec_b32 s73, s23
	s_cbranch_execnz .LBB20_89
.LBB20_57:                              ;   in Loop: Header=BB20_33 Depth=1
	s_or_b32 exec_lo, exec_lo, s73
	s_and_saveexec_b32 s73, s24
	s_cbranch_execnz .LBB20_90
.LBB20_58:                              ;   in Loop: Header=BB20_33 Depth=1
	s_or_b32 exec_lo, exec_lo, s73
	s_and_saveexec_b32 s73, s25
	s_cbranch_execnz .LBB20_91
.LBB20_59:                              ;   in Loop: Header=BB20_33 Depth=1
	s_or_b32 exec_lo, exec_lo, s73
	s_and_saveexec_b32 s73, s26
	s_cbranch_execnz .LBB20_92
.LBB20_60:                              ;   in Loop: Header=BB20_33 Depth=1
	s_or_b32 exec_lo, exec_lo, s73
	s_and_saveexec_b32 s73, s27
	s_cbranch_execnz .LBB20_93
.LBB20_61:                              ;   in Loop: Header=BB20_33 Depth=1
	s_or_b32 exec_lo, exec_lo, s73
	s_and_saveexec_b32 s73, s28
	s_cbranch_execnz .LBB20_94
.LBB20_62:                              ;   in Loop: Header=BB20_33 Depth=1
	s_or_b32 exec_lo, exec_lo, s73
	s_and_saveexec_b32 s73, s29
	s_cbranch_execnz .LBB20_95
.LBB20_63:                              ;   in Loop: Header=BB20_33 Depth=1
	s_or_b32 exec_lo, exec_lo, s73
	s_and_saveexec_b32 s73, s30
	s_cbranch_execnz .LBB20_96
.LBB20_64:                              ;   in Loop: Header=BB20_33 Depth=1
	s_or_b32 exec_lo, exec_lo, s73
	s_and_saveexec_b32 s73, s31
	s_cbranch_execnz .LBB20_97
.LBB20_65:                              ;   in Loop: Header=BB20_33 Depth=1
	s_or_b32 exec_lo, exec_lo, s73
	s_and_saveexec_b32 s31, vcc_lo
	s_cbranch_execz .LBB20_32
	s_branch .LBB20_98
.LBB20_66:                              ;   in Loop: Header=BB20_33 Depth=1
	v_mov_b32_e32 v8, s40
	ds_read_b32 v8, v8
	s_waitcnt lgkmcnt(0)
	v_add_nc_u32_e32 v7, v8, v7
	s_or_b32 exec_lo, exec_lo, s73
	s_and_saveexec_b32 s73, s1
	s_cbranch_execz .LBB20_35
.LBB20_67:                              ;   in Loop: Header=BB20_33 Depth=1
	v_mov_b32_e32 v8, s41
	ds_read_b32 v8, v8
	s_waitcnt lgkmcnt(0)
	v_add_nc_u32_e32 v7, v8, v7
	s_or_b32 exec_lo, exec_lo, s73
	s_and_saveexec_b32 s73, s2
	s_cbranch_execz .LBB20_36
.LBB20_68:                              ;   in Loop: Header=BB20_33 Depth=1
	v_mov_b32_e32 v8, s43
	ds_read_b32 v8, v8
	s_waitcnt lgkmcnt(0)
	v_add_nc_u32_e32 v7, v8, v7
	s_or_b32 exec_lo, exec_lo, s73
	s_and_saveexec_b32 s73, s3
	s_cbranch_execz .LBB20_37
.LBB20_69:                              ;   in Loop: Header=BB20_33 Depth=1
	v_mov_b32_e32 v8, s44
	ds_read_b32 v8, v8
	s_waitcnt lgkmcnt(0)
	v_add_nc_u32_e32 v7, v8, v7
	s_or_b32 exec_lo, exec_lo, s73
	s_and_saveexec_b32 s73, s4
	s_cbranch_execz .LBB20_38
.LBB20_70:                              ;   in Loop: Header=BB20_33 Depth=1
	v_mov_b32_e32 v8, s45
	ds_read_b32 v8, v8
	s_waitcnt lgkmcnt(0)
	v_add_nc_u32_e32 v7, v8, v7
	s_or_b32 exec_lo, exec_lo, s73
	s_and_saveexec_b32 s73, s5
	s_cbranch_execz .LBB20_39
.LBB20_71:                              ;   in Loop: Header=BB20_33 Depth=1
	v_mov_b32_e32 v8, s46
	ds_read_b32 v8, v8
	s_waitcnt lgkmcnt(0)
	v_add_nc_u32_e32 v7, v8, v7
	s_or_b32 exec_lo, exec_lo, s73
	s_and_saveexec_b32 s73, s6
	s_cbranch_execz .LBB20_40
.LBB20_72:                              ;   in Loop: Header=BB20_33 Depth=1
	v_mov_b32_e32 v8, s47
	ds_read_b32 v8, v8
	s_waitcnt lgkmcnt(0)
	v_add_nc_u32_e32 v7, v8, v7
	s_or_b32 exec_lo, exec_lo, s73
	s_and_saveexec_b32 s73, s7
	s_cbranch_execz .LBB20_41
.LBB20_73:                              ;   in Loop: Header=BB20_33 Depth=1
	v_mov_b32_e32 v8, s48
	ds_read_b32 v8, v8
	s_waitcnt lgkmcnt(0)
	v_add_nc_u32_e32 v7, v8, v7
	s_or_b32 exec_lo, exec_lo, s73
	s_and_saveexec_b32 s73, s8
	s_cbranch_execz .LBB20_42
.LBB20_74:                              ;   in Loop: Header=BB20_33 Depth=1
	v_mov_b32_e32 v8, s49
	ds_read_b32 v8, v8
	s_waitcnt lgkmcnt(0)
	v_add_nc_u32_e32 v7, v8, v7
	s_or_b32 exec_lo, exec_lo, s73
	s_and_saveexec_b32 s73, s9
	s_cbranch_execz .LBB20_43
.LBB20_75:                              ;   in Loop: Header=BB20_33 Depth=1
	v_mov_b32_e32 v8, s50
	ds_read_b32 v8, v8
	s_waitcnt lgkmcnt(0)
	v_add_nc_u32_e32 v7, v8, v7
	s_or_b32 exec_lo, exec_lo, s73
	s_and_saveexec_b32 s73, s10
	s_cbranch_execz .LBB20_44
.LBB20_76:                              ;   in Loop: Header=BB20_33 Depth=1
	v_mov_b32_e32 v8, s51
	ds_read_b32 v8, v8
	s_waitcnt lgkmcnt(0)
	v_add_nc_u32_e32 v7, v8, v7
	s_or_b32 exec_lo, exec_lo, s73
	s_and_saveexec_b32 s73, s11
	s_cbranch_execz .LBB20_45
.LBB20_77:                              ;   in Loop: Header=BB20_33 Depth=1
	v_mov_b32_e32 v8, s52
	ds_read_b32 v8, v8
	s_waitcnt lgkmcnt(0)
	v_add_nc_u32_e32 v7, v8, v7
	s_or_b32 exec_lo, exec_lo, s73
	s_and_saveexec_b32 s73, s12
	s_cbranch_execz .LBB20_46
.LBB20_78:                              ;   in Loop: Header=BB20_33 Depth=1
	v_mov_b32_e32 v8, s53
	ds_read_b32 v8, v8
	s_waitcnt lgkmcnt(0)
	v_add_nc_u32_e32 v7, v8, v7
	s_or_b32 exec_lo, exec_lo, s73
	s_and_saveexec_b32 s73, s13
	s_cbranch_execz .LBB20_47
.LBB20_79:                              ;   in Loop: Header=BB20_33 Depth=1
	v_mov_b32_e32 v8, s54
	ds_read_b32 v8, v8
	s_waitcnt lgkmcnt(0)
	v_add_nc_u32_e32 v7, v8, v7
	s_or_b32 exec_lo, exec_lo, s73
	s_and_saveexec_b32 s73, s14
	s_cbranch_execz .LBB20_48
.LBB20_80:                              ;   in Loop: Header=BB20_33 Depth=1
	v_mov_b32_e32 v8, s55
	ds_read_b32 v8, v8
	s_waitcnt lgkmcnt(0)
	v_add_nc_u32_e32 v7, v8, v7
	s_or_b32 exec_lo, exec_lo, s73
	s_and_saveexec_b32 s73, s15
	s_cbranch_execz .LBB20_49
.LBB20_81:                              ;   in Loop: Header=BB20_33 Depth=1
	v_mov_b32_e32 v8, s56
	ds_read_b32 v8, v8
	s_waitcnt lgkmcnt(0)
	v_add_nc_u32_e32 v7, v8, v7
	s_or_b32 exec_lo, exec_lo, s73
	s_and_saveexec_b32 s73, s16
	s_cbranch_execz .LBB20_50
.LBB20_82:                              ;   in Loop: Header=BB20_33 Depth=1
	v_mov_b32_e32 v8, s57
	ds_read_b32 v8, v8
	s_waitcnt lgkmcnt(0)
	v_add_nc_u32_e32 v7, v8, v7
	s_or_b32 exec_lo, exec_lo, s73
	s_and_saveexec_b32 s73, s17
	s_cbranch_execz .LBB20_51
.LBB20_83:                              ;   in Loop: Header=BB20_33 Depth=1
	v_mov_b32_e32 v8, s58
	ds_read_b32 v8, v8
	s_waitcnt lgkmcnt(0)
	v_add_nc_u32_e32 v7, v8, v7
	s_or_b32 exec_lo, exec_lo, s73
	s_and_saveexec_b32 s73, s18
	s_cbranch_execz .LBB20_52
.LBB20_84:                              ;   in Loop: Header=BB20_33 Depth=1
	v_mov_b32_e32 v8, s59
	ds_read_b32 v8, v8
	s_waitcnt lgkmcnt(0)
	v_add_nc_u32_e32 v7, v8, v7
	s_or_b32 exec_lo, exec_lo, s73
	s_and_saveexec_b32 s73, s19
	s_cbranch_execz .LBB20_53
.LBB20_85:                              ;   in Loop: Header=BB20_33 Depth=1
	v_mov_b32_e32 v8, s60
	ds_read_b32 v8, v8
	s_waitcnt lgkmcnt(0)
	v_add_nc_u32_e32 v7, v8, v7
	s_or_b32 exec_lo, exec_lo, s73
	s_and_saveexec_b32 s73, s20
	s_cbranch_execz .LBB20_54
.LBB20_86:                              ;   in Loop: Header=BB20_33 Depth=1
	v_mov_b32_e32 v8, s61
	ds_read_b32 v8, v8
	s_waitcnt lgkmcnt(0)
	v_add_nc_u32_e32 v7, v8, v7
	s_or_b32 exec_lo, exec_lo, s73
	s_and_saveexec_b32 s73, s21
	s_cbranch_execz .LBB20_55
.LBB20_87:                              ;   in Loop: Header=BB20_33 Depth=1
	v_mov_b32_e32 v8, s62
	ds_read_b32 v8, v8
	s_waitcnt lgkmcnt(0)
	v_add_nc_u32_e32 v7, v8, v7
	s_or_b32 exec_lo, exec_lo, s73
	s_and_saveexec_b32 s73, s22
	s_cbranch_execz .LBB20_56
.LBB20_88:                              ;   in Loop: Header=BB20_33 Depth=1
	v_mov_b32_e32 v8, s63
	ds_read_b32 v8, v8
	s_waitcnt lgkmcnt(0)
	v_add_nc_u32_e32 v7, v8, v7
	s_or_b32 exec_lo, exec_lo, s73
	s_and_saveexec_b32 s73, s23
	s_cbranch_execz .LBB20_57
.LBB20_89:                              ;   in Loop: Header=BB20_33 Depth=1
	v_mov_b32_e32 v8, s64
	ds_read_b32 v8, v8
	s_waitcnt lgkmcnt(0)
	v_add_nc_u32_e32 v7, v8, v7
	s_or_b32 exec_lo, exec_lo, s73
	s_and_saveexec_b32 s73, s24
	s_cbranch_execz .LBB20_58
.LBB20_90:                              ;   in Loop: Header=BB20_33 Depth=1
	v_mov_b32_e32 v8, s65
	ds_read_b32 v8, v8
	s_waitcnt lgkmcnt(0)
	v_add_nc_u32_e32 v7, v8, v7
	s_or_b32 exec_lo, exec_lo, s73
	s_and_saveexec_b32 s73, s25
	s_cbranch_execz .LBB20_59
.LBB20_91:                              ;   in Loop: Header=BB20_33 Depth=1
	v_mov_b32_e32 v8, s66
	ds_read_b32 v8, v8
	s_waitcnt lgkmcnt(0)
	v_add_nc_u32_e32 v7, v8, v7
	s_or_b32 exec_lo, exec_lo, s73
	s_and_saveexec_b32 s73, s26
	s_cbranch_execz .LBB20_60
.LBB20_92:                              ;   in Loop: Header=BB20_33 Depth=1
	v_mov_b32_e32 v8, s67
	ds_read_b32 v8, v8
	s_waitcnt lgkmcnt(0)
	v_add_nc_u32_e32 v7, v8, v7
	s_or_b32 exec_lo, exec_lo, s73
	s_and_saveexec_b32 s73, s27
	s_cbranch_execz .LBB20_61
.LBB20_93:                              ;   in Loop: Header=BB20_33 Depth=1
	v_mov_b32_e32 v8, s68
	ds_read_b32 v8, v8
	s_waitcnt lgkmcnt(0)
	v_add_nc_u32_e32 v7, v8, v7
	s_or_b32 exec_lo, exec_lo, s73
	s_and_saveexec_b32 s73, s28
	s_cbranch_execz .LBB20_62
.LBB20_94:                              ;   in Loop: Header=BB20_33 Depth=1
	v_mov_b32_e32 v8, s69
	ds_read_b32 v8, v8
	s_waitcnt lgkmcnt(0)
	v_add_nc_u32_e32 v7, v8, v7
	s_or_b32 exec_lo, exec_lo, s73
	s_and_saveexec_b32 s73, s29
	s_cbranch_execz .LBB20_63
.LBB20_95:                              ;   in Loop: Header=BB20_33 Depth=1
	v_mov_b32_e32 v8, s70
	ds_read_b32 v8, v8
	s_waitcnt lgkmcnt(0)
	v_add_nc_u32_e32 v7, v8, v7
	s_or_b32 exec_lo, exec_lo, s73
	s_and_saveexec_b32 s73, s30
	s_cbranch_execz .LBB20_64
.LBB20_96:                              ;   in Loop: Header=BB20_33 Depth=1
	v_mov_b32_e32 v8, s71
	ds_read_b32 v8, v8
	s_waitcnt lgkmcnt(0)
	v_add_nc_u32_e32 v7, v8, v7
	s_or_b32 exec_lo, exec_lo, s73
	s_and_saveexec_b32 s73, s31
	s_cbranch_execz .LBB20_65
.LBB20_97:                              ;   in Loop: Header=BB20_33 Depth=1
	v_lshlrev_b32_e32 v8, 2, v1
	v_lshlrev_b32_e32 v9, 2, v7
	v_add_nc_u32_e32 v8, 0, v8
	v_add3_u32 v8, v8, v9, -4
	ds_write_b32 v8, v6
	s_or_b32 exec_lo, exec_lo, s73
	s_and_saveexec_b32 s31, vcc_lo
	s_cbranch_execz .LBB20_32
.LBB20_98:                              ;   in Loop: Header=BB20_33 Depth=1
	v_mov_b32_e32 v6, s72
	ds_write_b32 v6, v7
	s_branch .LBB20_32
.LBB20_99:
	s_or_b32 exec_lo, exec_lo, s35
	s_ashr_i32 s35, s34, 31
	s_mov_b32 s3, exec_lo
	s_lshl_b64 s[0:1], s[34:35], 2
	s_add_u32 s0, s36, s0
	s_addc_u32 s1, s37, s1
	s_load_dwordx2 s[0:1], s[0:1], 0x0
	s_waitcnt lgkmcnt(0)
	s_sub_i32 s2, s1, s0
	v_cmpx_gt_i32_e64 s2, v0
	s_cbranch_execz .LBB20_109
; %bb.100:
	s_sub_i32 s3, s0, s42
	s_sub_i32 s0, s0, s1
	s_and_b32 s1, s2, 7
	s_cmp_lt_u32 s0, -7
	s_mov_b32 s7, 0
	s_cselect_b32 s4, -1, 0
	s_and_b32 s5, s2, -8
	s_cmp_lg_u32 s1, 0
	s_cselect_b32 s6, -1, 0
	s_branch .LBB20_102
.LBB20_101:                             ;   in Loop: Header=BB20_102 Depth=1
	v_ashrrev_i32_e32 v2, 31, v1
	v_add_nc_u32_e32 v0, 0x400, v0
	s_waitcnt lgkmcnt(0)
	v_add_nc_u32_e32 v3, s42, v3
	v_lshlrev_b64 v[1:2], 2, v[1:2]
	v_cmp_le_i32_e32 vcc_lo, s2, v0
	s_or_b32 s7, vcc_lo, s7
	v_add_co_u32 v1, s0, s38, v1
	v_add_co_ci_u32_e64 v2, null, s39, v2, s0
	global_store_dword v[1:2], v3, off
	s_andn2_b32 exec_lo, exec_lo, s7
	s_cbranch_execz .LBB20_109
.LBB20_102:                             ; =>This Loop Header: Depth=1
                                        ;     Child Loop BB20_104 Depth 2
                                        ;     Child Loop BB20_108 Depth 2
	v_lshl_add_u32 v1, v0, 2, 0
	s_andn2_b32 vcc_lo, exec_lo, s4
	s_mov_b32 s0, 0
	ds_read_b32 v3, v1
	v_mov_b32_e32 v1, s3
	s_cbranch_vccnz .LBB20_106
; %bb.103:                              ;   in Loop: Header=BB20_102 Depth=1
	v_mov_b32_e32 v1, s3
	s_mov_b32 s8, 0
	s_inst_prefetch 0x1
	.p2align	6
.LBB20_104:                             ;   Parent Loop BB20_102 Depth=1
                                        ; =>  This Inner Loop Header: Depth=2
	v_mov_b32_e32 v2, s8
	s_add_i32 s0, s0, 8
	s_add_i32 s8, s8, 32
	s_cmp_eq_u32 s5, s0
	ds_read2_b32 v[4:5], v2 offset1:1
	ds_read2_b32 v[6:7], v2 offset0:2 offset1:3
	ds_read2_b32 v[8:9], v2 offset0:4 offset1:5
	;; [unrolled: 1-line block ×3, first 2 shown]
	s_waitcnt lgkmcnt(3)
	v_cmp_gt_i32_e32 vcc_lo, v3, v4
	v_cndmask_b32_e64 v2, 0, 1, vcc_lo
	s_waitcnt lgkmcnt(2)
	v_cmp_gt_i32_e32 vcc_lo, v3, v6
	v_cndmask_b32_e64 v4, 0, 1, vcc_lo
	v_cmp_gt_i32_e32 vcc_lo, v3, v5
	v_add_co_ci_u32_e64 v1, null, v1, v2, vcc_lo
	s_waitcnt lgkmcnt(1)
	v_cmp_gt_i32_e32 vcc_lo, v3, v8
	v_cndmask_b32_e64 v2, 0, 1, vcc_lo
	v_cmp_gt_i32_e32 vcc_lo, v3, v7
	v_add_co_ci_u32_e64 v1, null, v1, v4, vcc_lo
	;; [unrolled: 5-line block ×3, first 2 shown]
	v_cmp_gt_i32_e32 vcc_lo, v3, v11
	v_add_co_ci_u32_e64 v1, null, v1, v4, vcc_lo
	s_cbranch_scc0 .LBB20_104
; %bb.105:                              ;   in Loop: Header=BB20_102 Depth=1
	s_inst_prefetch 0x2
	s_mov_b32 s0, s5
.LBB20_106:                             ;   in Loop: Header=BB20_102 Depth=1
	s_andn2_b32 vcc_lo, exec_lo, s6
	s_cbranch_vccnz .LBB20_101
; %bb.107:                              ;   in Loop: Header=BB20_102 Depth=1
	s_lshl_b32 s0, s0, 2
	s_mov_b32 s8, s1
	s_add_i32 s0, s0, 0
.LBB20_108:                             ;   Parent Loop BB20_102 Depth=1
                                        ; =>  This Inner Loop Header: Depth=2
	v_mov_b32_e32 v2, s0
	s_add_i32 s8, s8, -1
	s_add_i32 s0, s0, 4
	s_cmp_lg_u32 s8, 0
	ds_read_b32 v2, v2
	s_waitcnt lgkmcnt(0)
	v_cmp_gt_i32_e32 vcc_lo, v3, v2
	v_add_co_ci_u32_e64 v1, null, 0, v1, vcc_lo
	s_cbranch_scc1 .LBB20_108
	s_branch .LBB20_101
.LBB20_109:
	s_endpgm
	.section	.rodata,"a",@progbits
	.p2align	6, 0x0
	.amdhsa_kernel _ZN9rocsparseL35csrgemm_symbolic_fill_block_per_rowILj1024ELj64ELj32768ELj137ELj32EiiEEvT5_PKS1_S3_PKT4_S3_S6_S3_S6_S3_S6_PS1_21rocsparse_index_base_S8_S8_S8_bb
		.amdhsa_group_segment_fixed_size 0
		.amdhsa_private_segment_fixed_size 0
		.amdhsa_kernarg_size 108
		.amdhsa_user_sgpr_count 6
		.amdhsa_user_sgpr_private_segment_buffer 1
		.amdhsa_user_sgpr_dispatch_ptr 0
		.amdhsa_user_sgpr_queue_ptr 0
		.amdhsa_user_sgpr_kernarg_segment_ptr 1
		.amdhsa_user_sgpr_dispatch_id 0
		.amdhsa_user_sgpr_flat_scratch_init 0
		.amdhsa_user_sgpr_private_segment_size 0
		.amdhsa_wavefront_size32 1
		.amdhsa_uses_dynamic_stack 0
		.amdhsa_system_sgpr_private_segment_wavefront_offset 0
		.amdhsa_system_sgpr_workgroup_id_x 1
		.amdhsa_system_sgpr_workgroup_id_y 0
		.amdhsa_system_sgpr_workgroup_id_z 0
		.amdhsa_system_sgpr_workgroup_info 0
		.amdhsa_system_vgpr_workitem_id 0
		.amdhsa_next_free_vgpr 12
		.amdhsa_next_free_sgpr 74
		.amdhsa_reserve_vcc 1
		.amdhsa_reserve_flat_scratch 0
		.amdhsa_float_round_mode_32 0
		.amdhsa_float_round_mode_16_64 0
		.amdhsa_float_denorm_mode_32 3
		.amdhsa_float_denorm_mode_16_64 3
		.amdhsa_dx10_clamp 1
		.amdhsa_ieee_mode 1
		.amdhsa_fp16_overflow 0
		.amdhsa_workgroup_processor_mode 1
		.amdhsa_memory_ordered 1
		.amdhsa_forward_progress 1
		.amdhsa_shared_vgpr_count 0
		.amdhsa_exception_fp_ieee_invalid_op 0
		.amdhsa_exception_fp_denorm_src 0
		.amdhsa_exception_fp_ieee_div_zero 0
		.amdhsa_exception_fp_ieee_overflow 0
		.amdhsa_exception_fp_ieee_underflow 0
		.amdhsa_exception_fp_ieee_inexact 0
		.amdhsa_exception_int_div_zero 0
	.end_amdhsa_kernel
	.section	.text._ZN9rocsparseL35csrgemm_symbolic_fill_block_per_rowILj1024ELj64ELj32768ELj137ELj32EiiEEvT5_PKS1_S3_PKT4_S3_S6_S3_S6_S3_S6_PS1_21rocsparse_index_base_S8_S8_S8_bb,"axG",@progbits,_ZN9rocsparseL35csrgemm_symbolic_fill_block_per_rowILj1024ELj64ELj32768ELj137ELj32EiiEEvT5_PKS1_S3_PKT4_S3_S6_S3_S6_S3_S6_PS1_21rocsparse_index_base_S8_S8_S8_bb,comdat
.Lfunc_end20:
	.size	_ZN9rocsparseL35csrgemm_symbolic_fill_block_per_rowILj1024ELj64ELj32768ELj137ELj32EiiEEvT5_PKS1_S3_PKT4_S3_S6_S3_S6_S3_S6_PS1_21rocsparse_index_base_S8_S8_S8_bb, .Lfunc_end20-_ZN9rocsparseL35csrgemm_symbolic_fill_block_per_rowILj1024ELj64ELj32768ELj137ELj32EiiEEvT5_PKS1_S3_PKT4_S3_S6_S3_S6_S3_S6_PS1_21rocsparse_index_base_S8_S8_S8_bb
                                        ; -- End function
	.set _ZN9rocsparseL35csrgemm_symbolic_fill_block_per_rowILj1024ELj64ELj32768ELj137ELj32EiiEEvT5_PKS1_S3_PKT4_S3_S6_S3_S6_S3_S6_PS1_21rocsparse_index_base_S8_S8_S8_bb.num_vgpr, 12
	.set _ZN9rocsparseL35csrgemm_symbolic_fill_block_per_rowILj1024ELj64ELj32768ELj137ELj32EiiEEvT5_PKS1_S3_PKT4_S3_S6_S3_S6_S3_S6_PS1_21rocsparse_index_base_S8_S8_S8_bb.num_agpr, 0
	.set _ZN9rocsparseL35csrgemm_symbolic_fill_block_per_rowILj1024ELj64ELj32768ELj137ELj32EiiEEvT5_PKS1_S3_PKT4_S3_S6_S3_S6_S3_S6_PS1_21rocsparse_index_base_S8_S8_S8_bb.numbered_sgpr, 74
	.set _ZN9rocsparseL35csrgemm_symbolic_fill_block_per_rowILj1024ELj64ELj32768ELj137ELj32EiiEEvT5_PKS1_S3_PKT4_S3_S6_S3_S6_S3_S6_PS1_21rocsparse_index_base_S8_S8_S8_bb.num_named_barrier, 0
	.set _ZN9rocsparseL35csrgemm_symbolic_fill_block_per_rowILj1024ELj64ELj32768ELj137ELj32EiiEEvT5_PKS1_S3_PKT4_S3_S6_S3_S6_S3_S6_PS1_21rocsparse_index_base_S8_S8_S8_bb.private_seg_size, 0
	.set _ZN9rocsparseL35csrgemm_symbolic_fill_block_per_rowILj1024ELj64ELj32768ELj137ELj32EiiEEvT5_PKS1_S3_PKT4_S3_S6_S3_S6_S3_S6_PS1_21rocsparse_index_base_S8_S8_S8_bb.uses_vcc, 1
	.set _ZN9rocsparseL35csrgemm_symbolic_fill_block_per_rowILj1024ELj64ELj32768ELj137ELj32EiiEEvT5_PKS1_S3_PKT4_S3_S6_S3_S6_S3_S6_PS1_21rocsparse_index_base_S8_S8_S8_bb.uses_flat_scratch, 0
	.set _ZN9rocsparseL35csrgemm_symbolic_fill_block_per_rowILj1024ELj64ELj32768ELj137ELj32EiiEEvT5_PKS1_S3_PKT4_S3_S6_S3_S6_S3_S6_PS1_21rocsparse_index_base_S8_S8_S8_bb.has_dyn_sized_stack, 0
	.set _ZN9rocsparseL35csrgemm_symbolic_fill_block_per_rowILj1024ELj64ELj32768ELj137ELj32EiiEEvT5_PKS1_S3_PKT4_S3_S6_S3_S6_S3_S6_PS1_21rocsparse_index_base_S8_S8_S8_bb.has_recursion, 0
	.set _ZN9rocsparseL35csrgemm_symbolic_fill_block_per_rowILj1024ELj64ELj32768ELj137ELj32EiiEEvT5_PKS1_S3_PKT4_S3_S6_S3_S6_S3_S6_PS1_21rocsparse_index_base_S8_S8_S8_bb.has_indirect_call, 0
	.section	.AMDGPU.csdata,"",@progbits
; Kernel info:
; codeLenInByte = 3892
; TotalNumSgprs: 76
; NumVgprs: 12
; ScratchSize: 0
; MemoryBound: 0
; FloatMode: 240
; IeeeMode: 1
; LDSByteSize: 0 bytes/workgroup (compile time only)
; SGPRBlocks: 0
; VGPRBlocks: 1
; NumSGPRsForWavesPerEU: 76
; NumVGPRsForWavesPerEU: 12
; Occupancy: 16
; WaveLimiterHint : 1
; COMPUTE_PGM_RSRC2:SCRATCH_EN: 0
; COMPUTE_PGM_RSRC2:USER_SGPR: 6
; COMPUTE_PGM_RSRC2:TRAP_HANDLER: 0
; COMPUTE_PGM_RSRC2:TGID_X_EN: 1
; COMPUTE_PGM_RSRC2:TGID_Y_EN: 0
; COMPUTE_PGM_RSRC2:TGID_Z_EN: 0
; COMPUTE_PGM_RSRC2:TIDIG_COMP_CNT: 0
	.section	.text._ZN9rocsparseL35csrgemm_symbolic_fill_block_per_rowILj1024ELj64ELj32768ELj137ELj64EiiEEvT5_PKS1_S3_PKT4_S3_S6_S3_S6_S3_S6_PS1_21rocsparse_index_base_S8_S8_S8_bb,"axG",@progbits,_ZN9rocsparseL35csrgemm_symbolic_fill_block_per_rowILj1024ELj64ELj32768ELj137ELj64EiiEEvT5_PKS1_S3_PKT4_S3_S6_S3_S6_S3_S6_PS1_21rocsparse_index_base_S8_S8_S8_bb,comdat
	.globl	_ZN9rocsparseL35csrgemm_symbolic_fill_block_per_rowILj1024ELj64ELj32768ELj137ELj64EiiEEvT5_PKS1_S3_PKT4_S3_S6_S3_S6_S3_S6_PS1_21rocsparse_index_base_S8_S8_S8_bb ; -- Begin function _ZN9rocsparseL35csrgemm_symbolic_fill_block_per_rowILj1024ELj64ELj32768ELj137ELj64EiiEEvT5_PKS1_S3_PKT4_S3_S6_S3_S6_S3_S6_PS1_21rocsparse_index_base_S8_S8_S8_bb
	.p2align	8
	.type	_ZN9rocsparseL35csrgemm_symbolic_fill_block_per_rowILj1024ELj64ELj32768ELj137ELj64EiiEEvT5_PKS1_S3_PKT4_S3_S6_S3_S6_S3_S6_PS1_21rocsparse_index_base_S8_S8_S8_bb,@function
_ZN9rocsparseL35csrgemm_symbolic_fill_block_per_rowILj1024ELj64ELj32768ELj137ELj64EiiEEvT5_PKS1_S3_PKT4_S3_S6_S3_S6_S3_S6_PS1_21rocsparse_index_base_S8_S8_S8_bb: ; @_ZN9rocsparseL35csrgemm_symbolic_fill_block_per_rowILj1024ELj64ELj32768ELj137ELj64EiiEEvT5_PKS1_S3_PKT4_S3_S6_S3_S6_S3_S6_PS1_21rocsparse_index_base_S8_S8_S8_bb
; %bb.0:
	s_clause 0x3
	s_load_dword s30, s[4:5], 0x0
	s_load_dwordx4 s[24:27], s[4:5], 0x48
	s_load_dwordx8 s[8:15], s[4:5], 0x28
	s_load_dwordx8 s[16:23], s[4:5], 0x8
	v_lshl_add_u32 v4, v0, 2, 0
	v_or_b32_e32 v5, 0xfffffc00, v0
	s_mov_b32 s0, 0
	v_mov_b32_e32 v1, v4
	v_mov_b32_e32 v3, v5
	s_waitcnt lgkmcnt(0)
	v_mov_b32_e32 v2, s30
.LBB21_1:                               ; =>This Inner Loop Header: Depth=1
	v_add_nc_u32_e32 v3, 0x400, v3
	ds_write_b32 v1, v2
	v_add_nc_u32_e32 v1, 0x1000, v1
	v_cmp_lt_u32_e32 vcc_lo, 0x7bff, v3
	s_or_b32 s0, vcc_lo, s0
	s_andn2_b32 exec_lo, exec_lo, s0
	s_cbranch_execnz .LBB21_1
; %bb.2:
	s_or_b32 exec_lo, exec_lo, s0
	s_load_dword s0, s[4:5], 0x68
	s_waitcnt lgkmcnt(0)
	s_barrier
	buffer_gl0_inv
	s_load_dword s1, s[16:17], 0x0
	s_mov_b32 s3, 0
	v_lshrrev_b32_e32 v6, 6, v0
	s_bitcmp1_b32 s0, 0
	s_cselect_b32 s7, -1, 0
	s_waitcnt lgkmcnt(0)
	s_add_i32 s2, s1, s6
	s_lshl_b64 s[2:3], s[2:3], 2
	s_add_u32 s2, s18, s2
	s_addc_u32 s3, s19, s3
	s_load_dwordx4 s[16:19], s[4:5], 0x58
	s_load_dword s28, s[2:3], 0x0
	s_and_b32 vcc_lo, exec_lo, s7
	s_cbranch_vccz .LBB21_18
; %bb.3:
	s_waitcnt lgkmcnt(0)
	s_ashr_i32 s29, s28, 31
	v_subrev_nc_u32_e32 v1, s16, v6
	s_lshl_b64 s[2:3], s[28:29], 2
	s_add_u32 s2, s20, s2
	s_addc_u32 s3, s21, s3
	s_load_dwordx2 s[2:3], s[2:3], 0x0
	s_waitcnt lgkmcnt(0)
	v_add_nc_u32_e32 v1, s2, v1
	s_sub_i32 s1, s3, s16
	s_mov_b32 s2, exec_lo
	v_cmpx_gt_i32_e64 s1, v1
	s_cbranch_execz .LBB21_17
; %bb.4:
	v_and_b32_e32 v2, 63, v0
	s_mov_b32 s3, 0
	v_subrev_nc_u32_e32 v7, s17, v2
	s_branch .LBB21_6
.LBB21_5:                               ;   in Loop: Header=BB21_6 Depth=1
	s_or_b32 exec_lo, exec_lo, s4
	v_add_nc_u32_e32 v1, 16, v1
	v_cmp_le_i32_e32 vcc_lo, s1, v1
	s_or_b32 s3, vcc_lo, s3
	s_andn2_b32 exec_lo, exec_lo, s3
	s_cbranch_execz .LBB21_17
.LBB21_6:                               ; =>This Loop Header: Depth=1
                                        ;     Child Loop BB21_9 Depth 2
                                        ;       Child Loop BB21_12 Depth 3
	v_ashrrev_i32_e32 v2, 31, v1
	s_mov_b32 s4, exec_lo
	v_lshlrev_b64 v[2:3], 2, v[1:2]
	v_add_co_u32 v2, vcc_lo, s22, v2
	v_add_co_ci_u32_e64 v3, null, s23, v3, vcc_lo
	global_load_dword v2, v[2:3], off
	s_waitcnt vmcnt(0)
	v_subrev_nc_u32_e32 v2, s16, v2
	v_ashrrev_i32_e32 v3, 31, v2
	v_lshlrev_b64 v[2:3], 2, v[2:3]
	v_add_co_u32 v2, vcc_lo, s8, v2
	v_add_co_ci_u32_e64 v3, null, s9, v3, vcc_lo
	global_load_dwordx2 v[2:3], v[2:3], off
	s_waitcnt vmcnt(0)
	v_subrev_nc_u32_e32 v8, s17, v3
	v_add_nc_u32_e32 v2, v2, v7
	v_cmpx_lt_i32_e64 v2, v8
	s_cbranch_execz .LBB21_5
; %bb.7:                                ;   in Loop: Header=BB21_6 Depth=1
	s_mov_b32 s5, 0
	s_branch .LBB21_9
.LBB21_8:                               ;   in Loop: Header=BB21_9 Depth=2
	s_inst_prefetch 0x2
	s_or_b32 exec_lo, exec_lo, s6
	v_add_nc_u32_e32 v2, 64, v2
	v_cmp_ge_i32_e32 vcc_lo, v2, v8
	s_or_b32 s5, vcc_lo, s5
	s_andn2_b32 exec_lo, exec_lo, s5
	s_cbranch_execz .LBB21_5
.LBB21_9:                               ;   Parent Loop BB21_6 Depth=1
                                        ; =>  This Loop Header: Depth=2
                                        ;       Child Loop BB21_12 Depth 3
	v_ashrrev_i32_e32 v3, 31, v2
	s_mov_b32 s6, 0
                                        ; implicit-def: $sgpr7
	v_lshlrev_b64 v[9:10], 2, v[2:3]
	v_add_co_u32 v9, vcc_lo, s10, v9
	v_add_co_ci_u32_e64 v10, null, s11, v10, vcc_lo
	global_load_dword v3, v[9:10], off
	s_waitcnt vmcnt(0)
	v_subrev_nc_u32_e32 v3, s17, v3
	v_mul_lo_u32 v9, 0x89, v3
	v_and_b32_e32 v9, 0x7fff, v9
	s_inst_prefetch 0x1
	s_branch .LBB21_12
	.p2align	6
.LBB21_10:                              ;   in Loop: Header=BB21_12 Depth=3
	s_or_b32 exec_lo, exec_lo, s21
	s_andn2_b32 s7, s7, exec_lo
	s_and_b32 s21, s29, exec_lo
	s_or_b32 s7, s7, s21
.LBB21_11:                              ;   in Loop: Header=BB21_12 Depth=3
	s_or_b32 exec_lo, exec_lo, s20
	s_xor_b32 s20, s7, -1
	s_and_b32 s20, exec_lo, s20
	s_or_b32 s6, s20, s6
	s_andn2_b32 exec_lo, exec_lo, s6
	s_cbranch_execz .LBB21_8
.LBB21_12:                              ;   Parent Loop BB21_6 Depth=1
                                        ;     Parent Loop BB21_9 Depth=2
                                        ; =>    This Inner Loop Header: Depth=3
	v_lshl_add_u32 v10, v9, 2, 0
	s_andn2_b32 s7, s7, exec_lo
	s_mov_b32 s20, exec_lo
	ds_read_b32 v11, v10
	s_waitcnt lgkmcnt(0)
	v_cmpx_ne_u32_e64 v11, v3
	s_cbranch_execz .LBB21_11
; %bb.13:                               ;   in Loop: Header=BB21_12 Depth=3
	s_mov_b32 s21, exec_lo
	v_cmpx_ne_u32_e64 s30, v11
	s_xor_b32 s21, exec_lo, s21
; %bb.14:                               ;   in Loop: Header=BB21_12 Depth=3
	v_add_nc_u32_e32 v9, 1, v9
                                        ; implicit-def: $vgpr10
	v_and_b32_e32 v9, 0x7fff, v9
; %bb.15:                               ;   in Loop: Header=BB21_12 Depth=3
	s_or_saveexec_b32 s21, s21
	s_mov_b32 s29, -1
	s_xor_b32 exec_lo, exec_lo, s21
	s_cbranch_execz .LBB21_10
; %bb.16:                               ;   in Loop: Header=BB21_12 Depth=3
	v_mov_b32_e32 v11, s30
	ds_cmpst_rtn_b32 v10, v10, v11, v3
	s_waitcnt lgkmcnt(0)
	v_cmp_ne_u32_e32 vcc_lo, s30, v10
	s_orn2_b32 s29, vcc_lo, exec_lo
	s_branch .LBB21_10
.LBB21_17:
	s_or_b32 exec_lo, exec_lo, s2
.LBB21_18:
	s_bfe_u32 s0, s0, 0x10008
	s_cmp_eq_u32 s0, 0
	s_cbranch_scc1 .LBB21_31
; %bb.19:
	s_waitcnt lgkmcnt(0)
	s_ashr_i32 s29, s28, 31
	v_subrev_nc_u32_e32 v1, s19, v0
	s_lshl_b64 s[0:1], s[28:29], 2
	s_add_u32 s0, s12, s0
	s_addc_u32 s1, s13, s1
	s_load_dwordx2 s[0:1], s[0:1], 0x0
	s_waitcnt lgkmcnt(0)
	v_add_nc_u32_e32 v1, s0, v1
	s_sub_i32 s0, s1, s19
	s_mov_b32 s1, exec_lo
	v_cmpx_gt_i32_e64 s0, v1
	s_cbranch_execz .LBB21_30
; %bb.20:
	s_mov_b32 s2, 0
	s_branch .LBB21_22
.LBB21_21:                              ;   in Loop: Header=BB21_22 Depth=1
	s_inst_prefetch 0x2
	s_or_b32 exec_lo, exec_lo, s3
	v_add_nc_u32_e32 v1, 0x400, v1
	v_cmp_le_i32_e32 vcc_lo, s0, v1
	s_or_b32 s2, vcc_lo, s2
	s_andn2_b32 exec_lo, exec_lo, s2
	s_cbranch_execz .LBB21_30
.LBB21_22:                              ; =>This Loop Header: Depth=1
                                        ;     Child Loop BB21_25 Depth 2
	v_ashrrev_i32_e32 v2, 31, v1
	s_mov_b32 s3, 0
                                        ; implicit-def: $sgpr4
	v_lshlrev_b64 v[2:3], 2, v[1:2]
	v_add_co_u32 v2, vcc_lo, s14, v2
	v_add_co_ci_u32_e64 v3, null, s15, v3, vcc_lo
	global_load_dword v2, v[2:3], off
	s_waitcnt vmcnt(0)
	v_subrev_nc_u32_e32 v2, s19, v2
	v_mul_lo_u32 v3, 0x89, v2
	v_and_b32_e32 v3, 0x7fff, v3
	s_inst_prefetch 0x1
	s_branch .LBB21_25
	.p2align	6
.LBB21_23:                              ;   in Loop: Header=BB21_25 Depth=2
	s_or_b32 exec_lo, exec_lo, s6
	s_andn2_b32 s4, s4, exec_lo
	s_and_b32 s6, s7, exec_lo
	s_or_b32 s4, s4, s6
.LBB21_24:                              ;   in Loop: Header=BB21_25 Depth=2
	s_or_b32 exec_lo, exec_lo, s5
	s_xor_b32 s5, s4, -1
	s_and_b32 s5, exec_lo, s5
	s_or_b32 s3, s5, s3
	s_andn2_b32 exec_lo, exec_lo, s3
	s_cbranch_execz .LBB21_21
.LBB21_25:                              ;   Parent Loop BB21_22 Depth=1
                                        ; =>  This Inner Loop Header: Depth=2
	v_lshl_add_u32 v7, v3, 2, 0
	s_andn2_b32 s4, s4, exec_lo
	s_mov_b32 s5, exec_lo
	ds_read_b32 v8, v7
	s_waitcnt lgkmcnt(0)
	v_cmpx_ne_u32_e64 v8, v2
	s_cbranch_execz .LBB21_24
; %bb.26:                               ;   in Loop: Header=BB21_25 Depth=2
	s_mov_b32 s6, exec_lo
	v_cmpx_ne_u32_e64 s30, v8
	s_xor_b32 s6, exec_lo, s6
; %bb.27:                               ;   in Loop: Header=BB21_25 Depth=2
	v_add_nc_u32_e32 v3, 1, v3
                                        ; implicit-def: $vgpr7
	v_and_b32_e32 v3, 0x7fff, v3
; %bb.28:                               ;   in Loop: Header=BB21_25 Depth=2
	s_or_saveexec_b32 s6, s6
	s_mov_b32 s7, -1
	s_xor_b32 exec_lo, exec_lo, s6
	s_cbranch_execz .LBB21_23
; %bb.29:                               ;   in Loop: Header=BB21_25 Depth=2
	v_mov_b32_e32 v8, s30
	ds_cmpst_rtn_b32 v7, v7, v8, v2
	s_waitcnt lgkmcnt(0)
	v_cmp_ne_u32_e32 vcc_lo, s30, v7
	s_orn2_b32 s7, vcc_lo, exec_lo
	s_branch .LBB21_23
.LBB21_30:
	s_or_b32 exec_lo, exec_lo, s1
.LBB21_31:
	v_mbcnt_lo_u32_b32 v1, -1, 0
	v_lshlrev_b32_e32 v2, 2, v6
	s_add_i32 s36, 0, 0x2003c
	v_cmp_lt_u32_e64 s0, 63, v0
	v_cmp_lt_u32_e64 s1, 0x7f, v0
	v_xor_b32_e32 v3, 31, v1
	v_mov_b32_e32 v1, 0
	v_add3_u32 v2, 0x20000, 0, v2
	v_cmp_lt_u32_e64 s2, 0xbf, v0
	v_cmp_lt_u32_e64 s3, 0xff, v0
	v_lshrrev_b32_e64 v3, v3, -1
	v_cmp_lt_u32_e64 s4, 0x13f, v0
	v_cmp_lt_u32_e64 s5, 0x17f, v0
	;; [unrolled: 1-line block ×11, first 2 shown]
	v_mov_b32_e32 v6, s36
	s_waitcnt lgkmcnt(0)
	s_mov_b32 s16, 0
	s_add_i32 s17, 0, 0x20000
	s_add_i32 s19, 0, 0x20004
	s_add_i32 s20, 0, 0x20008
	s_add_i32 s21, 0, 0x2000c
	s_add_i32 s22, 0, 0x20010
	s_add_i32 s23, 0, 0x20014
	s_add_i32 s29, 0, 0x20018
	s_add_i32 s31, 0, 0x2001c
	s_add_i32 s33, 0, 0x20020
	s_add_i32 s34, 0, 0x20024
	s_add_i32 s35, 0, 0x20028
	s_add_i32 s37, 0, 0x2002c
	s_add_i32 s38, 0, 0x20030
	s_add_i32 s39, 0, 0x20034
	s_add_i32 s40, 0, 0x20038
	s_barrier
	v_cmp_eq_u32_e32 vcc_lo, 0x3ff, v0
	buffer_gl0_inv
	s_branch .LBB21_33
.LBB21_32:                              ;   in Loop: Header=BB21_33 Depth=1
	s_or_b32 exec_lo, exec_lo, s15
	s_waitcnt lgkmcnt(0)
	s_barrier
	buffer_gl0_inv
	ds_read_b32 v7, v6
	v_add_nc_u32_e32 v5, 0x400, v5
	v_add_nc_u32_e32 v4, 0x1000, v4
	v_cmp_lt_u32_e64 s15, 0x7bff, v5
	s_or_b32 s16, s15, s16
	s_waitcnt lgkmcnt(0)
	v_add_nc_u32_e32 v1, v7, v1
	s_andn2_b32 exec_lo, exec_lo, s16
	s_cbranch_execz .LBB21_67
.LBB21_33:                              ; =>This Inner Loop Header: Depth=1
	ds_read_b32 v7, v4
	s_waitcnt lgkmcnt(0)
	s_barrier
	buffer_gl0_inv
	v_cmp_gt_i32_e64 s15, s30, v7
	v_and_b32_e32 v8, s15, v3
	s_bcnt1_i32_b32 s41, s15
	v_mov_b32_e32 v9, s41
	v_bcnt_u32_b32 v8, v8, 0
	ds_write_b32 v2, v9
	s_waitcnt lgkmcnt(0)
	s_barrier
	buffer_gl0_inv
	s_and_saveexec_b32 s41, s0
	s_cbranch_execnz .LBB21_50
; %bb.34:                               ;   in Loop: Header=BB21_33 Depth=1
	s_or_b32 exec_lo, exec_lo, s41
	s_and_saveexec_b32 s41, s1
	s_cbranch_execnz .LBB21_51
.LBB21_35:                              ;   in Loop: Header=BB21_33 Depth=1
	s_or_b32 exec_lo, exec_lo, s41
	s_and_saveexec_b32 s41, s2
	s_cbranch_execnz .LBB21_52
.LBB21_36:                              ;   in Loop: Header=BB21_33 Depth=1
	s_or_b32 exec_lo, exec_lo, s41
	s_and_saveexec_b32 s41, s3
	s_cbranch_execnz .LBB21_53
.LBB21_37:                              ;   in Loop: Header=BB21_33 Depth=1
	s_or_b32 exec_lo, exec_lo, s41
	s_and_saveexec_b32 s41, s4
	s_cbranch_execnz .LBB21_54
.LBB21_38:                              ;   in Loop: Header=BB21_33 Depth=1
	s_or_b32 exec_lo, exec_lo, s41
	s_and_saveexec_b32 s41, s5
	s_cbranch_execnz .LBB21_55
.LBB21_39:                              ;   in Loop: Header=BB21_33 Depth=1
	s_or_b32 exec_lo, exec_lo, s41
	s_and_saveexec_b32 s41, s6
	s_cbranch_execnz .LBB21_56
.LBB21_40:                              ;   in Loop: Header=BB21_33 Depth=1
	s_or_b32 exec_lo, exec_lo, s41
	s_and_saveexec_b32 s41, s7
	s_cbranch_execnz .LBB21_57
.LBB21_41:                              ;   in Loop: Header=BB21_33 Depth=1
	s_or_b32 exec_lo, exec_lo, s41
	s_and_saveexec_b32 s41, s8
	s_cbranch_execnz .LBB21_58
.LBB21_42:                              ;   in Loop: Header=BB21_33 Depth=1
	s_or_b32 exec_lo, exec_lo, s41
	s_and_saveexec_b32 s41, s9
	s_cbranch_execnz .LBB21_59
.LBB21_43:                              ;   in Loop: Header=BB21_33 Depth=1
	s_or_b32 exec_lo, exec_lo, s41
	s_and_saveexec_b32 s41, s10
	s_cbranch_execnz .LBB21_60
.LBB21_44:                              ;   in Loop: Header=BB21_33 Depth=1
	s_or_b32 exec_lo, exec_lo, s41
	s_and_saveexec_b32 s41, s11
	s_cbranch_execnz .LBB21_61
.LBB21_45:                              ;   in Loop: Header=BB21_33 Depth=1
	s_or_b32 exec_lo, exec_lo, s41
	s_and_saveexec_b32 s41, s12
	s_cbranch_execnz .LBB21_62
.LBB21_46:                              ;   in Loop: Header=BB21_33 Depth=1
	s_or_b32 exec_lo, exec_lo, s41
	s_and_saveexec_b32 s41, s13
	s_cbranch_execnz .LBB21_63
.LBB21_47:                              ;   in Loop: Header=BB21_33 Depth=1
	s_or_b32 exec_lo, exec_lo, s41
	s_and_saveexec_b32 s41, s14
	s_cbranch_execnz .LBB21_64
.LBB21_48:                              ;   in Loop: Header=BB21_33 Depth=1
	s_or_b32 exec_lo, exec_lo, s41
	s_and_saveexec_b32 s41, s15
	s_cbranch_execnz .LBB21_65
.LBB21_49:                              ;   in Loop: Header=BB21_33 Depth=1
	s_or_b32 exec_lo, exec_lo, s41
	s_and_saveexec_b32 s15, vcc_lo
	s_cbranch_execz .LBB21_32
	s_branch .LBB21_66
.LBB21_50:                              ;   in Loop: Header=BB21_33 Depth=1
	v_mov_b32_e32 v9, s17
	ds_read_b32 v9, v9
	s_waitcnt lgkmcnt(0)
	v_add_nc_u32_e32 v8, v9, v8
	s_or_b32 exec_lo, exec_lo, s41
	s_and_saveexec_b32 s41, s1
	s_cbranch_execz .LBB21_35
.LBB21_51:                              ;   in Loop: Header=BB21_33 Depth=1
	v_mov_b32_e32 v9, s19
	ds_read_b32 v9, v9
	s_waitcnt lgkmcnt(0)
	v_add_nc_u32_e32 v8, v9, v8
	s_or_b32 exec_lo, exec_lo, s41
	s_and_saveexec_b32 s41, s2
	s_cbranch_execz .LBB21_36
.LBB21_52:                              ;   in Loop: Header=BB21_33 Depth=1
	v_mov_b32_e32 v9, s20
	ds_read_b32 v9, v9
	s_waitcnt lgkmcnt(0)
	v_add_nc_u32_e32 v8, v9, v8
	s_or_b32 exec_lo, exec_lo, s41
	s_and_saveexec_b32 s41, s3
	s_cbranch_execz .LBB21_37
.LBB21_53:                              ;   in Loop: Header=BB21_33 Depth=1
	v_mov_b32_e32 v9, s21
	ds_read_b32 v9, v9
	s_waitcnt lgkmcnt(0)
	v_add_nc_u32_e32 v8, v9, v8
	s_or_b32 exec_lo, exec_lo, s41
	s_and_saveexec_b32 s41, s4
	s_cbranch_execz .LBB21_38
.LBB21_54:                              ;   in Loop: Header=BB21_33 Depth=1
	v_mov_b32_e32 v9, s22
	ds_read_b32 v9, v9
	s_waitcnt lgkmcnt(0)
	v_add_nc_u32_e32 v8, v9, v8
	s_or_b32 exec_lo, exec_lo, s41
	s_and_saveexec_b32 s41, s5
	s_cbranch_execz .LBB21_39
.LBB21_55:                              ;   in Loop: Header=BB21_33 Depth=1
	v_mov_b32_e32 v9, s23
	ds_read_b32 v9, v9
	s_waitcnt lgkmcnt(0)
	v_add_nc_u32_e32 v8, v9, v8
	s_or_b32 exec_lo, exec_lo, s41
	s_and_saveexec_b32 s41, s6
	s_cbranch_execz .LBB21_40
.LBB21_56:                              ;   in Loop: Header=BB21_33 Depth=1
	v_mov_b32_e32 v9, s29
	ds_read_b32 v9, v9
	s_waitcnt lgkmcnt(0)
	v_add_nc_u32_e32 v8, v9, v8
	s_or_b32 exec_lo, exec_lo, s41
	s_and_saveexec_b32 s41, s7
	s_cbranch_execz .LBB21_41
.LBB21_57:                              ;   in Loop: Header=BB21_33 Depth=1
	v_mov_b32_e32 v9, s31
	ds_read_b32 v9, v9
	s_waitcnt lgkmcnt(0)
	v_add_nc_u32_e32 v8, v9, v8
	s_or_b32 exec_lo, exec_lo, s41
	s_and_saveexec_b32 s41, s8
	s_cbranch_execz .LBB21_42
.LBB21_58:                              ;   in Loop: Header=BB21_33 Depth=1
	v_mov_b32_e32 v9, s33
	ds_read_b32 v9, v9
	s_waitcnt lgkmcnt(0)
	v_add_nc_u32_e32 v8, v9, v8
	s_or_b32 exec_lo, exec_lo, s41
	s_and_saveexec_b32 s41, s9
	s_cbranch_execz .LBB21_43
.LBB21_59:                              ;   in Loop: Header=BB21_33 Depth=1
	v_mov_b32_e32 v9, s34
	ds_read_b32 v9, v9
	s_waitcnt lgkmcnt(0)
	v_add_nc_u32_e32 v8, v9, v8
	s_or_b32 exec_lo, exec_lo, s41
	s_and_saveexec_b32 s41, s10
	s_cbranch_execz .LBB21_44
.LBB21_60:                              ;   in Loop: Header=BB21_33 Depth=1
	v_mov_b32_e32 v9, s35
	ds_read_b32 v9, v9
	s_waitcnt lgkmcnt(0)
	v_add_nc_u32_e32 v8, v9, v8
	s_or_b32 exec_lo, exec_lo, s41
	s_and_saveexec_b32 s41, s11
	s_cbranch_execz .LBB21_45
.LBB21_61:                              ;   in Loop: Header=BB21_33 Depth=1
	v_mov_b32_e32 v9, s37
	ds_read_b32 v9, v9
	s_waitcnt lgkmcnt(0)
	v_add_nc_u32_e32 v8, v9, v8
	s_or_b32 exec_lo, exec_lo, s41
	s_and_saveexec_b32 s41, s12
	s_cbranch_execz .LBB21_46
.LBB21_62:                              ;   in Loop: Header=BB21_33 Depth=1
	v_mov_b32_e32 v9, s38
	ds_read_b32 v9, v9
	s_waitcnt lgkmcnt(0)
	v_add_nc_u32_e32 v8, v9, v8
	s_or_b32 exec_lo, exec_lo, s41
	s_and_saveexec_b32 s41, s13
	s_cbranch_execz .LBB21_47
.LBB21_63:                              ;   in Loop: Header=BB21_33 Depth=1
	v_mov_b32_e32 v9, s39
	ds_read_b32 v9, v9
	s_waitcnt lgkmcnt(0)
	v_add_nc_u32_e32 v8, v9, v8
	s_or_b32 exec_lo, exec_lo, s41
	s_and_saveexec_b32 s41, s14
	s_cbranch_execz .LBB21_48
.LBB21_64:                              ;   in Loop: Header=BB21_33 Depth=1
	v_mov_b32_e32 v9, s40
	ds_read_b32 v9, v9
	s_waitcnt lgkmcnt(0)
	v_add_nc_u32_e32 v8, v9, v8
	s_or_b32 exec_lo, exec_lo, s41
	s_and_saveexec_b32 s41, s15
	s_cbranch_execz .LBB21_49
.LBB21_65:                              ;   in Loop: Header=BB21_33 Depth=1
	v_lshlrev_b32_e32 v9, 2, v1
	v_lshlrev_b32_e32 v10, 2, v8
	v_add_nc_u32_e32 v9, 0, v9
	v_add3_u32 v9, v9, v10, -4
	ds_write_b32 v9, v7
	s_or_b32 exec_lo, exec_lo, s41
	s_and_saveexec_b32 s15, vcc_lo
	s_cbranch_execz .LBB21_32
.LBB21_66:                              ;   in Loop: Header=BB21_33 Depth=1
	v_mov_b32_e32 v7, s36
	ds_write_b32 v7, v8
	s_branch .LBB21_32
.LBB21_67:
	s_or_b32 exec_lo, exec_lo, s16
	s_ashr_i32 s29, s28, 31
	s_mov_b32 s3, exec_lo
	s_lshl_b64 s[0:1], s[28:29], 2
	s_add_u32 s0, s24, s0
	s_addc_u32 s1, s25, s1
	s_load_dwordx2 s[0:1], s[0:1], 0x0
	s_waitcnt lgkmcnt(0)
	s_sub_i32 s2, s1, s0
	v_cmpx_gt_i32_e64 s2, v0
	s_cbranch_execz .LBB21_77
; %bb.68:
	s_sub_i32 s3, s0, s18
	s_sub_i32 s0, s0, s1
	s_and_b32 s1, s2, 7
	s_cmp_lt_u32 s0, -7
	s_mov_b32 s7, 0
	s_cselect_b32 s4, -1, 0
	s_and_b32 s5, s2, -8
	s_cmp_lg_u32 s1, 0
	s_cselect_b32 s6, -1, 0
	s_branch .LBB21_70
.LBB21_69:                              ;   in Loop: Header=BB21_70 Depth=1
	v_ashrrev_i32_e32 v2, 31, v1
	v_add_nc_u32_e32 v0, 0x400, v0
	s_waitcnt lgkmcnt(0)
	v_add_nc_u32_e32 v3, s18, v3
	v_lshlrev_b64 v[1:2], 2, v[1:2]
	v_cmp_le_i32_e32 vcc_lo, s2, v0
	s_or_b32 s7, vcc_lo, s7
	v_add_co_u32 v1, s0, s26, v1
	v_add_co_ci_u32_e64 v2, null, s27, v2, s0
	global_store_dword v[1:2], v3, off
	s_andn2_b32 exec_lo, exec_lo, s7
	s_cbranch_execz .LBB21_77
.LBB21_70:                              ; =>This Loop Header: Depth=1
                                        ;     Child Loop BB21_72 Depth 2
                                        ;     Child Loop BB21_76 Depth 2
	v_lshl_add_u32 v1, v0, 2, 0
	s_andn2_b32 vcc_lo, exec_lo, s4
	s_mov_b32 s0, 0
	ds_read_b32 v3, v1
	v_mov_b32_e32 v1, s3
	s_cbranch_vccnz .LBB21_74
; %bb.71:                               ;   in Loop: Header=BB21_70 Depth=1
	v_mov_b32_e32 v1, s3
	s_mov_b32 s8, 0
	s_inst_prefetch 0x1
	.p2align	6
.LBB21_72:                              ;   Parent Loop BB21_70 Depth=1
                                        ; =>  This Inner Loop Header: Depth=2
	v_mov_b32_e32 v2, s8
	s_add_i32 s0, s0, 8
	s_add_i32 s8, s8, 32
	s_cmp_eq_u32 s5, s0
	ds_read2_b32 v[4:5], v2 offset1:1
	ds_read2_b32 v[6:7], v2 offset0:2 offset1:3
	ds_read2_b32 v[8:9], v2 offset0:4 offset1:5
	;; [unrolled: 1-line block ×3, first 2 shown]
	s_waitcnt lgkmcnt(3)
	v_cmp_gt_i32_e32 vcc_lo, v3, v4
	v_cndmask_b32_e64 v2, 0, 1, vcc_lo
	s_waitcnt lgkmcnt(2)
	v_cmp_gt_i32_e32 vcc_lo, v3, v6
	v_cndmask_b32_e64 v4, 0, 1, vcc_lo
	v_cmp_gt_i32_e32 vcc_lo, v3, v5
	v_add_co_ci_u32_e64 v1, null, v1, v2, vcc_lo
	s_waitcnt lgkmcnt(1)
	v_cmp_gt_i32_e32 vcc_lo, v3, v8
	v_cndmask_b32_e64 v2, 0, 1, vcc_lo
	v_cmp_gt_i32_e32 vcc_lo, v3, v7
	v_add_co_ci_u32_e64 v1, null, v1, v4, vcc_lo
	;; [unrolled: 5-line block ×3, first 2 shown]
	v_cmp_gt_i32_e32 vcc_lo, v3, v11
	v_add_co_ci_u32_e64 v1, null, v1, v4, vcc_lo
	s_cbranch_scc0 .LBB21_72
; %bb.73:                               ;   in Loop: Header=BB21_70 Depth=1
	s_inst_prefetch 0x2
	s_mov_b32 s0, s5
.LBB21_74:                              ;   in Loop: Header=BB21_70 Depth=1
	s_andn2_b32 vcc_lo, exec_lo, s6
	s_cbranch_vccnz .LBB21_69
; %bb.75:                               ;   in Loop: Header=BB21_70 Depth=1
	s_lshl_b32 s0, s0, 2
	s_mov_b32 s8, s1
	s_add_i32 s0, s0, 0
.LBB21_76:                              ;   Parent Loop BB21_70 Depth=1
                                        ; =>  This Inner Loop Header: Depth=2
	v_mov_b32_e32 v2, s0
	s_add_i32 s8, s8, -1
	s_add_i32 s0, s0, 4
	s_cmp_lg_u32 s8, 0
	ds_read_b32 v2, v2
	s_waitcnt lgkmcnt(0)
	v_cmp_gt_i32_e32 vcc_lo, v3, v2
	v_add_co_ci_u32_e64 v1, null, 0, v1, vcc_lo
	s_cbranch_scc1 .LBB21_76
	s_branch .LBB21_69
.LBB21_77:
	s_endpgm
	.section	.rodata,"a",@progbits
	.p2align	6, 0x0
	.amdhsa_kernel _ZN9rocsparseL35csrgemm_symbolic_fill_block_per_rowILj1024ELj64ELj32768ELj137ELj64EiiEEvT5_PKS1_S3_PKT4_S3_S6_S3_S6_S3_S6_PS1_21rocsparse_index_base_S8_S8_S8_bb
		.amdhsa_group_segment_fixed_size 0
		.amdhsa_private_segment_fixed_size 0
		.amdhsa_kernarg_size 108
		.amdhsa_user_sgpr_count 6
		.amdhsa_user_sgpr_private_segment_buffer 1
		.amdhsa_user_sgpr_dispatch_ptr 0
		.amdhsa_user_sgpr_queue_ptr 0
		.amdhsa_user_sgpr_kernarg_segment_ptr 1
		.amdhsa_user_sgpr_dispatch_id 0
		.amdhsa_user_sgpr_flat_scratch_init 0
		.amdhsa_user_sgpr_private_segment_size 0
		.amdhsa_wavefront_size32 1
		.amdhsa_uses_dynamic_stack 0
		.amdhsa_system_sgpr_private_segment_wavefront_offset 0
		.amdhsa_system_sgpr_workgroup_id_x 1
		.amdhsa_system_sgpr_workgroup_id_y 0
		.amdhsa_system_sgpr_workgroup_id_z 0
		.amdhsa_system_sgpr_workgroup_info 0
		.amdhsa_system_vgpr_workitem_id 0
		.amdhsa_next_free_vgpr 12
		.amdhsa_next_free_sgpr 42
		.amdhsa_reserve_vcc 1
		.amdhsa_reserve_flat_scratch 0
		.amdhsa_float_round_mode_32 0
		.amdhsa_float_round_mode_16_64 0
		.amdhsa_float_denorm_mode_32 3
		.amdhsa_float_denorm_mode_16_64 3
		.amdhsa_dx10_clamp 1
		.amdhsa_ieee_mode 1
		.amdhsa_fp16_overflow 0
		.amdhsa_workgroup_processor_mode 1
		.amdhsa_memory_ordered 1
		.amdhsa_forward_progress 1
		.amdhsa_shared_vgpr_count 0
		.amdhsa_exception_fp_ieee_invalid_op 0
		.amdhsa_exception_fp_denorm_src 0
		.amdhsa_exception_fp_ieee_div_zero 0
		.amdhsa_exception_fp_ieee_overflow 0
		.amdhsa_exception_fp_ieee_underflow 0
		.amdhsa_exception_fp_ieee_inexact 0
		.amdhsa_exception_int_div_zero 0
	.end_amdhsa_kernel
	.section	.text._ZN9rocsparseL35csrgemm_symbolic_fill_block_per_rowILj1024ELj64ELj32768ELj137ELj64EiiEEvT5_PKS1_S3_PKT4_S3_S6_S3_S6_S3_S6_PS1_21rocsparse_index_base_S8_S8_S8_bb,"axG",@progbits,_ZN9rocsparseL35csrgemm_symbolic_fill_block_per_rowILj1024ELj64ELj32768ELj137ELj64EiiEEvT5_PKS1_S3_PKT4_S3_S6_S3_S6_S3_S6_PS1_21rocsparse_index_base_S8_S8_S8_bb,comdat
.Lfunc_end21:
	.size	_ZN9rocsparseL35csrgemm_symbolic_fill_block_per_rowILj1024ELj64ELj32768ELj137ELj64EiiEEvT5_PKS1_S3_PKT4_S3_S6_S3_S6_S3_S6_PS1_21rocsparse_index_base_S8_S8_S8_bb, .Lfunc_end21-_ZN9rocsparseL35csrgemm_symbolic_fill_block_per_rowILj1024ELj64ELj32768ELj137ELj64EiiEEvT5_PKS1_S3_PKT4_S3_S6_S3_S6_S3_S6_PS1_21rocsparse_index_base_S8_S8_S8_bb
                                        ; -- End function
	.set _ZN9rocsparseL35csrgemm_symbolic_fill_block_per_rowILj1024ELj64ELj32768ELj137ELj64EiiEEvT5_PKS1_S3_PKT4_S3_S6_S3_S6_S3_S6_PS1_21rocsparse_index_base_S8_S8_S8_bb.num_vgpr, 12
	.set _ZN9rocsparseL35csrgemm_symbolic_fill_block_per_rowILj1024ELj64ELj32768ELj137ELj64EiiEEvT5_PKS1_S3_PKT4_S3_S6_S3_S6_S3_S6_PS1_21rocsparse_index_base_S8_S8_S8_bb.num_agpr, 0
	.set _ZN9rocsparseL35csrgemm_symbolic_fill_block_per_rowILj1024ELj64ELj32768ELj137ELj64EiiEEvT5_PKS1_S3_PKT4_S3_S6_S3_S6_S3_S6_PS1_21rocsparse_index_base_S8_S8_S8_bb.numbered_sgpr, 42
	.set _ZN9rocsparseL35csrgemm_symbolic_fill_block_per_rowILj1024ELj64ELj32768ELj137ELj64EiiEEvT5_PKS1_S3_PKT4_S3_S6_S3_S6_S3_S6_PS1_21rocsparse_index_base_S8_S8_S8_bb.num_named_barrier, 0
	.set _ZN9rocsparseL35csrgemm_symbolic_fill_block_per_rowILj1024ELj64ELj32768ELj137ELj64EiiEEvT5_PKS1_S3_PKT4_S3_S6_S3_S6_S3_S6_PS1_21rocsparse_index_base_S8_S8_S8_bb.private_seg_size, 0
	.set _ZN9rocsparseL35csrgemm_symbolic_fill_block_per_rowILj1024ELj64ELj32768ELj137ELj64EiiEEvT5_PKS1_S3_PKT4_S3_S6_S3_S6_S3_S6_PS1_21rocsparse_index_base_S8_S8_S8_bb.uses_vcc, 1
	.set _ZN9rocsparseL35csrgemm_symbolic_fill_block_per_rowILj1024ELj64ELj32768ELj137ELj64EiiEEvT5_PKS1_S3_PKT4_S3_S6_S3_S6_S3_S6_PS1_21rocsparse_index_base_S8_S8_S8_bb.uses_flat_scratch, 0
	.set _ZN9rocsparseL35csrgemm_symbolic_fill_block_per_rowILj1024ELj64ELj32768ELj137ELj64EiiEEvT5_PKS1_S3_PKT4_S3_S6_S3_S6_S3_S6_PS1_21rocsparse_index_base_S8_S8_S8_bb.has_dyn_sized_stack, 0
	.set _ZN9rocsparseL35csrgemm_symbolic_fill_block_per_rowILj1024ELj64ELj32768ELj137ELj64EiiEEvT5_PKS1_S3_PKT4_S3_S6_S3_S6_S3_S6_PS1_21rocsparse_index_base_S8_S8_S8_bb.has_recursion, 0
	.set _ZN9rocsparseL35csrgemm_symbolic_fill_block_per_rowILj1024ELj64ELj32768ELj137ELj64EiiEEvT5_PKS1_S3_PKT4_S3_S6_S3_S6_S3_S6_PS1_21rocsparse_index_base_S8_S8_S8_bb.has_indirect_call, 0
	.section	.AMDGPU.csdata,"",@progbits
; Kernel info:
; codeLenInByte = 2868
; TotalNumSgprs: 44
; NumVgprs: 12
; ScratchSize: 0
; MemoryBound: 0
; FloatMode: 240
; IeeeMode: 1
; LDSByteSize: 0 bytes/workgroup (compile time only)
; SGPRBlocks: 0
; VGPRBlocks: 1
; NumSGPRsForWavesPerEU: 44
; NumVGPRsForWavesPerEU: 12
; Occupancy: 16
; WaveLimiterHint : 1
; COMPUTE_PGM_RSRC2:SCRATCH_EN: 0
; COMPUTE_PGM_RSRC2:USER_SGPR: 6
; COMPUTE_PGM_RSRC2:TRAP_HANDLER: 0
; COMPUTE_PGM_RSRC2:TGID_X_EN: 1
; COMPUTE_PGM_RSRC2:TGID_Y_EN: 0
; COMPUTE_PGM_RSRC2:TGID_Z_EN: 0
; COMPUTE_PGM_RSRC2:TIDIG_COMP_CNT: 0
	.section	.text._ZN9rocsparseL45csrgemm_symbolic_fill_block_per_row_multipassILj512ELj16ELj2048ELj32EiiEEvT4_PKS1_S3_PKT3_S3_S6_S3_S6_S3_S6_PS1_PS4_21rocsparse_index_base_S9_S9_S9_bb,"axG",@progbits,_ZN9rocsparseL45csrgemm_symbolic_fill_block_per_row_multipassILj512ELj16ELj2048ELj32EiiEEvT4_PKS1_S3_PKT3_S3_S6_S3_S6_S3_S6_PS1_PS4_21rocsparse_index_base_S9_S9_S9_bb,comdat
	.globl	_ZN9rocsparseL45csrgemm_symbolic_fill_block_per_row_multipassILj512ELj16ELj2048ELj32EiiEEvT4_PKS1_S3_PKT3_S3_S6_S3_S6_S3_S6_PS1_PS4_21rocsparse_index_base_S9_S9_S9_bb ; -- Begin function _ZN9rocsparseL45csrgemm_symbolic_fill_block_per_row_multipassILj512ELj16ELj2048ELj32EiiEEvT4_PKS1_S3_PKT3_S3_S6_S3_S6_S3_S6_PS1_PS4_21rocsparse_index_base_S9_S9_S9_bb
	.p2align	8
	.type	_ZN9rocsparseL45csrgemm_symbolic_fill_block_per_row_multipassILj512ELj16ELj2048ELj32EiiEEvT4_PKS1_S3_PKT3_S3_S6_S3_S6_S3_S6_PS1_PS4_21rocsparse_index_base_S9_S9_S9_bb,@function
_ZN9rocsparseL45csrgemm_symbolic_fill_block_per_row_multipassILj512ELj16ELj2048ELj32EiiEEvT4_PKS1_S3_PKT3_S3_S6_S3_S6_S3_S6_PS1_PS4_21rocsparse_index_base_S9_S9_S9_bb: ; @_ZN9rocsparseL45csrgemm_symbolic_fill_block_per_row_multipassILj512ELj16ELj2048ELj32EiiEEvT4_PKS1_S3_PKT3_S3_S6_S3_S6_S3_S6_PS1_PS4_21rocsparse_index_base_S9_S9_S9_bb
; %bb.0:
	s_clause 0x2
	s_load_dwordx4 s[8:11], s[4:5], 0x8
	s_load_dword s2, s[4:5], 0x70
	s_load_dwordx2 s[0:1], s[4:5], 0x18
	s_mov_b32 s21, 0
	s_waitcnt lgkmcnt(0)
	s_load_dword s3, s[8:9], 0x0
	s_load_dwordx4 s[44:47], s[4:5], 0x60
	s_bitcmp1_b32 s2, 0
	s_mov_b32 s8, 0
	s_cselect_b32 s18, -1, 0
	s_waitcnt lgkmcnt(0)
	s_add_i32 s20, s3, s6
	s_lshl_b64 s[6:7], s[20:21], 2
	s_add_u32 s6, s10, s6
	s_addc_u32 s7, s11, s7
	s_bitcmp0_b32 s2, 0
	s_load_dword s6, s[6:7], 0x0
	s_cbranch_scc0 .LBB22_3
; %bb.1:
	s_andn2_b32 vcc_lo, exec_lo, s18
	s_cbranch_vccz .LBB22_4
.LBB22_2:
	s_load_dword s33, s[4:5], 0x0
	s_waitcnt lgkmcnt(0)
	s_cmp_lt_i32 s33, 1
	s_cbranch_scc0 .LBB22_5
	s_branch .LBB22_64
.LBB22_3:
	s_waitcnt lgkmcnt(0)
	s_ashr_i32 s7, s6, 31
	s_lshl_b64 s[8:9], s[6:7], 2
	s_add_u32 s8, s0, s8
	s_addc_u32 s9, s1, s9
	s_load_dword s3, s[8:9], 0x0
	s_waitcnt lgkmcnt(0)
	s_sub_i32 s8, s3, s44
	s_andn2_b32 vcc_lo, exec_lo, s18
	s_cbranch_vccnz .LBB22_2
.LBB22_4:
	s_waitcnt lgkmcnt(0)
	s_ashr_i32 s7, s6, 31
	s_lshl_b64 s[10:11], s[6:7], 2
	s_add_u32 s0, s0, s10
	s_addc_u32 s1, s1, s11
	s_load_dword s0, s[0:1], 0x4
	s_waitcnt lgkmcnt(0)
	s_sub_i32 s21, s0, s44
	s_load_dword s33, s[4:5], 0x0
	s_waitcnt lgkmcnt(0)
	s_cmp_lt_i32 s33, 1
	s_cbranch_scc1 .LBB22_64
.LBB22_5:
	s_clause 0x1
	s_load_dwordx8 s[24:31], s[4:5], 0x40
	s_load_dwordx8 s[36:43], s[4:5], 0x20
	v_lshrrev_b32_e32 v1, 4, v0
	v_mbcnt_lo_u32_b32 v2, -1, 0
	s_bitcmp1_b32 s2, 8
	v_lshrrev_b32_e32 v3, 3, v0
	s_cselect_b32 s34, -1, 0
	v_add_nc_u32_e32 v9, s8, v1
	v_xor_b32_e32 v1, 8, v2
	s_ashr_i32 s7, s6, 31
	v_xor_b32_e32 v4, 4, v2
	s_lshl_b64 s[22:23], s[6:7], 2
	v_xor_b32_e32 v5, 2, v2
	v_cmp_gt_i32_e64 s7, 32, v1
	v_xor_b32_e32 v11, 1, v2
	v_and_b32_e32 v10, 60, v3
	v_and_b32_e32 v6, 15, v0
	v_xor_b32_e32 v12, 31, v2
	v_cndmask_b32_e64 v1, v2, v1, s7
	v_cmp_gt_i32_e64 s7, 32, v4
	s_waitcnt lgkmcnt(0)
	s_add_u32 s8, s26, s22
	s_addc_u32 s9, s27, s23
	v_cmp_gt_i32_e32 vcc_lo, s21, v9
	s_load_dword s8, s[8:9], 0x0
	v_cndmask_b32_e64 v3, v2, v4, s7
	v_cmp_gt_i32_e64 s7, 32, v5
	v_cmp_eq_u32_e64 s0, 0, v0
	v_subrev_nc_u32_e32 v7, s47, v0
	v_mov_b32_e32 v8, 0
	v_cmp_eq_u32_e64 s1, 0x1ff, v0
	v_cndmask_b32_e64 v4, v2, v5, s7
	v_cmp_gt_i32_e64 s7, 32, v11
	v_cmp_gt_u32_e64 s2, 32, v0
	v_cmp_gt_u32_e64 s3, 64, v0
	;; [unrolled: 1-line block ×4, first 2 shown]
	v_cndmask_b32_e64 v2, v2, v11, s7
	v_cmp_eq_u32_e64 s6, 15, v6
	v_lshrrev_b32_e64 v11, v12, -1
	v_lshlrev_b32_e32 v12, 2, v1
	v_lshlrev_b32_e32 v13, 2, v3
	;; [unrolled: 1-line block ×4, first 2 shown]
	s_waitcnt lgkmcnt(0)
	s_sub_i32 s19, s8, s46
	v_cmp_gt_u32_e64 s7, 0xa0, v0
	v_cmp_gt_u32_e64 s8, 0xc0, v0
	;; [unrolled: 1-line block ×11, first 2 shown]
	v_mov_b32_e32 v19, 0x800
	v_mov_b32_e32 v16, s19
	v_mov_b32_e32 v17, 1
	v_mov_b32_e32 v18, 0
	s_add_u32 s22, s42, s22
	s_addc_u32 s23, s43, s23
	s_and_b32 s26, s18, vcc_lo
	s_mov_b32 s27, -1
	s_branch .LBB22_7
.LBB22_6:                               ;   in Loop: Header=BB22_7 Depth=1
	s_or_b32 exec_lo, exec_lo, s18
	ds_read_b32 v18, v8 offset:10240
	s_waitcnt lgkmcnt(0)
	s_barrier
	buffer_gl0_inv
	v_cmp_le_i32_e32 vcc_lo, s33, v18
	v_add_nc_u32_e32 v19, 0x800, v18
	s_cbranch_vccnz .LBB22_64
.LBB22_7:                               ; =>This Loop Header: Depth=1
                                        ;     Child Loop BB22_16 Depth 2
                                        ;       Child Loop BB22_22 Depth 3
                                        ;     Child Loop BB22_43 Depth 2
                                        ;     Child Loop BB22_55 Depth 2
	;; [unrolled: 1-line block ×3, first 2 shown]
	s_and_saveexec_b32 s18, s27
	s_cbranch_execnz .LBB22_34
; %bb.8:                                ;   in Loop: Header=BB22_7 Depth=1
	s_or_b32 exec_lo, exec_lo, s18
	s_and_saveexec_b32 s18, s27
	s_cbranch_execnz .LBB22_35
.LBB22_9:                               ;   in Loop: Header=BB22_7 Depth=1
	s_or_b32 exec_lo, exec_lo, s18
	s_and_saveexec_b32 s18, s27
	s_cbranch_execnz .LBB22_36
.LBB22_10:                              ;   in Loop: Header=BB22_7 Depth=1
	s_or_b32 exec_lo, exec_lo, s18
	s_and_saveexec_b32 s18, s27
	s_cbranch_execnz .LBB22_37
.LBB22_11:                              ;   in Loop: Header=BB22_7 Depth=1
	s_or_b32 exec_lo, exec_lo, s18
	s_and_saveexec_b32 s18, s0
.LBB22_12:                              ;   in Loop: Header=BB22_7 Depth=1
	v_mov_b32_e32 v1, s33
	ds_write_b32 v8, v1 offset:10240
.LBB22_13:                              ;   in Loop: Header=BB22_7 Depth=1
	s_or_b32 exec_lo, exec_lo, s18
	v_mov_b32_e32 v20, s33
	s_waitcnt lgkmcnt(0)
	s_barrier
	buffer_gl0_inv
	s_and_saveexec_b32 s35, s26
	s_cbranch_execz .LBB22_39
; %bb.14:                               ;   in Loop: Header=BB22_7 Depth=1
	v_cmp_ne_u32_e64 s18, 0, v18
	v_mov_b32_e32 v20, s33
	v_mov_b32_e32 v1, v9
	s_mov_b32 s42, 0
	s_branch .LBB22_16
.LBB22_15:                              ;   in Loop: Header=BB22_16 Depth=2
	s_or_b32 exec_lo, exec_lo, s19
	v_add_nc_u32_e32 v1, 32, v1
	v_cmp_le_i32_e32 vcc_lo, s21, v1
	s_or_b32 s42, vcc_lo, s42
	s_andn2_b32 exec_lo, exec_lo, s42
	s_cbranch_execz .LBB22_38
.LBB22_16:                              ;   Parent Loop BB22_7 Depth=1
                                        ; =>  This Loop Header: Depth=2
                                        ;       Child Loop BB22_22 Depth 3
	v_ashrrev_i32_e32 v2, 31, v1
	v_lshlrev_b64 v[2:3], 2, v[1:2]
	v_add_co_u32 v4, vcc_lo, s36, v2
	s_waitcnt lgkmcnt(0)
	v_add_co_ci_u32_e64 v5, null, s37, v3, vcc_lo
	s_and_b32 vcc_lo, exec_lo, s18
	global_load_dword v4, v[4:5], off
	s_waitcnt vmcnt(0)
	v_subrev_nc_u32_e32 v4, s44, v4
	v_ashrrev_i32_e32 v5, 31, v4
	s_cbranch_vccz .LBB22_33
; %bb.17:                               ;   in Loop: Header=BB22_16 Depth=2
	v_add_co_u32 v21, vcc_lo, s30, v2
	v_add_co_ci_u32_e64 v22, null, s31, v3, vcc_lo
	global_load_dword v21, v[21:22], off
	s_cbranch_execnz .LBB22_19
.LBB22_18:                              ;   in Loop: Header=BB22_16 Depth=2
	s_waitcnt vmcnt(0)
	v_lshlrev_b64 v[21:22], 2, v[4:5]
	v_add_co_u32 v21, vcc_lo, s38, v21
	v_add_co_ci_u32_e64 v22, null, s39, v22, vcc_lo
	global_load_dword v21, v[21:22], off
	s_waitcnt vmcnt(0)
	v_subrev_nc_u32_e32 v21, s45, v21
.LBB22_19:                              ;   in Loop: Header=BB22_16 Depth=2
	v_lshlrev_b64 v[4:5], 2, v[4:5]
	s_waitcnt vmcnt(0)
	v_add_nc_u32_e32 v21, v21, v6
	s_mov_b32 s43, exec_lo
	v_add_co_u32 v4, vcc_lo, s38, v4
	v_add_co_ci_u32_e64 v5, null, s39, v5, vcc_lo
	global_load_dword v4, v[4:5], off offset:4
	s_waitcnt vmcnt(0)
	v_subrev_nc_u32_e32 v22, s45, v4
	v_cmpx_lt_i32_e64 v21, v22
	s_cbranch_execz .LBB22_31
; %bb.20:                               ;   in Loop: Header=BB22_16 Depth=2
	v_mov_b32_e32 v23, v21
	s_mov_b32 s49, 0
                                        ; implicit-def: $sgpr48
                                        ; implicit-def: $sgpr50
	s_inst_prefetch 0x1
	s_branch .LBB22_22
	.p2align	6
.LBB22_21:                              ;   in Loop: Header=BB22_22 Depth=3
	s_or_b32 exec_lo, exec_lo, s51
	s_and_b32 s19, exec_lo, s20
	s_or_b32 s49, s19, s49
	s_andn2_b32 s19, s48, exec_lo
	s_and_b32 s20, s50, exec_lo
	s_or_b32 s48, s19, s20
	s_andn2_b32 exec_lo, exec_lo, s49
	s_cbranch_execz .LBB22_28
.LBB22_22:                              ;   Parent Loop BB22_7 Depth=1
                                        ;     Parent Loop BB22_16 Depth=2
                                        ; =>    This Inner Loop Header: Depth=3
	v_mov_b32_e32 v4, v23
	v_ashrrev_i32_e32 v5, 31, v4
	v_lshlrev_b64 v[23:24], 2, v[4:5]
	v_add_co_u32 v23, vcc_lo, s40, v23
	v_add_co_ci_u32_e64 v24, null, s41, v24, vcc_lo
	global_load_dword v5, v[23:24], off
	s_waitcnt vmcnt(0)
	v_subrev_nc_u32_e32 v5, s45, v5
	v_cmp_lt_i32_e64 s19, v5, v18
	v_cmp_ge_i32_e64 s20, v5, v19
	v_cmp_lt_i32_e32 vcc_lo, v5, v19
	s_or_b32 s20, s19, s20
	s_mov_b32 s19, 0
	s_and_saveexec_b32 s51, s20
	s_xor_b32 s20, exec_lo, s51
; %bb.23:                               ;   in Loop: Header=BB22_22 Depth=3
	s_and_b32 s19, vcc_lo, exec_lo
; %bb.24:                               ;   in Loop: Header=BB22_22 Depth=3
	s_andn2_saveexec_b32 s20, s20
; %bb.25:                               ;   in Loop: Header=BB22_22 Depth=3
	v_sub_nc_u32_e32 v23, v5, v18
	s_or_b32 s19, s19, exec_lo
	ds_write_b8 v23, v17 offset:8192
; %bb.26:                               ;   in Loop: Header=BB22_22 Depth=3
	s_or_b32 exec_lo, exec_lo, s20
	s_mov_b32 s20, -1
	s_or_b32 s50, s50, exec_lo
                                        ; implicit-def: $vgpr23
	s_and_saveexec_b32 s51, s19
	s_cbranch_execz .LBB22_21
; %bb.27:                               ;   in Loop: Header=BB22_22 Depth=3
	v_add_nc_u32_e32 v23, 16, v4
	s_andn2_b32 s50, s50, exec_lo
	v_cmp_ge_i32_e32 vcc_lo, v23, v22
	s_orn2_b32 s20, vcc_lo, exec_lo
	s_branch .LBB22_21
.LBB22_28:                              ;   in Loop: Header=BB22_16 Depth=2
	s_inst_prefetch 0x2
	s_or_b32 exec_lo, exec_lo, s49
	s_and_saveexec_b32 s19, s48
	s_xor_b32 s19, exec_lo, s19
; %bb.29:                               ;   in Loop: Header=BB22_16 Depth=2
	v_min_i32_e32 v20, v5, v20
	v_mov_b32_e32 v21, v4
; %bb.30:                               ;   in Loop: Header=BB22_16 Depth=2
	s_or_b32 exec_lo, exec_lo, s19
.LBB22_31:                              ;   in Loop: Header=BB22_16 Depth=2
	s_or_b32 exec_lo, exec_lo, s43
	ds_bpermute_b32 v4, v12, v21
	s_waitcnt lgkmcnt(0)
	v_min_i32_e32 v4, v4, v21
	ds_bpermute_b32 v5, v13, v4
	s_waitcnt lgkmcnt(0)
	v_min_i32_e32 v4, v5, v4
	;; [unrolled: 3-line block ×3, first 2 shown]
	ds_bpermute_b32 v5, v15, v4
	s_and_saveexec_b32 s19, s6
	s_cbranch_execz .LBB22_15
; %bb.32:                               ;   in Loop: Header=BB22_16 Depth=2
	v_add_co_u32 v2, vcc_lo, s30, v2
	s_waitcnt lgkmcnt(0)
	v_min_i32_e32 v4, v5, v4
	v_add_co_ci_u32_e64 v3, null, s31, v3, vcc_lo
	global_store_dword v[2:3], v4, off
	s_branch .LBB22_15
.LBB22_33:                              ;   in Loop: Header=BB22_16 Depth=2
                                        ; implicit-def: $vgpr21
	s_branch .LBB22_18
.LBB22_34:                              ;   in Loop: Header=BB22_7 Depth=1
	ds_write_b8 v0, v8 offset:8192
	s_or_b32 exec_lo, exec_lo, s18
	s_and_saveexec_b32 s18, s27
	s_cbranch_execz .LBB22_9
.LBB22_35:                              ;   in Loop: Header=BB22_7 Depth=1
	ds_write_b8 v0, v8 offset:8704
	s_or_b32 exec_lo, exec_lo, s18
	s_and_saveexec_b32 s18, s27
	s_cbranch_execz .LBB22_10
.LBB22_36:                              ;   in Loop: Header=BB22_7 Depth=1
	ds_write_b8 v0, v8 offset:9216
	s_or_b32 exec_lo, exec_lo, s18
	s_and_saveexec_b32 s18, s27
	s_cbranch_execz .LBB22_11
.LBB22_37:                              ;   in Loop: Header=BB22_7 Depth=1
	ds_write_b8 v0, v8 offset:9728
	s_or_b32 exec_lo, exec_lo, s18
	s_and_saveexec_b32 s18, s0
	s_cbranch_execnz .LBB22_12
	s_branch .LBB22_13
.LBB22_38:                              ;   in Loop: Header=BB22_7 Depth=1
	s_or_b32 exec_lo, exec_lo, s42
.LBB22_39:                              ;   in Loop: Header=BB22_7 Depth=1
	s_or_b32 exec_lo, exec_lo, s35
	s_andn2_b32 vcc_lo, exec_lo, s34
	s_cbranch_vccnz .LBB22_53
; %bb.40:                               ;   in Loop: Header=BB22_7 Depth=1
	s_load_dwordx2 s[18:19], s[22:23], 0x0
	s_mov_b32 s20, exec_lo
	s_waitcnt lgkmcnt(0)
	v_add_nc_u32_e32 v1, s18, v7
	s_sub_i32 s35, s19, s47
	v_cmpx_gt_i32_e64 s35, v1
	s_cbranch_execz .LBB22_52
; %bb.41:                               ;   in Loop: Header=BB22_7 Depth=1
	s_mov_b32 s42, 0
                                        ; implicit-def: $sgpr43
                                        ; implicit-def: $sgpr48
	s_inst_prefetch 0x1
	s_branch .LBB22_43
	.p2align	6
.LBB22_42:                              ;   in Loop: Header=BB22_43 Depth=2
	s_or_b32 exec_lo, exec_lo, s49
	s_and_b32 s18, exec_lo, s19
	s_or_b32 s42, s18, s42
	s_andn2_b32 s18, s43, exec_lo
	s_and_b32 s19, s48, exec_lo
	s_or_b32 s43, s18, s19
	s_andn2_b32 exec_lo, exec_lo, s42
	s_cbranch_execz .LBB22_49
.LBB22_43:                              ;   Parent Loop BB22_7 Depth=1
                                        ; =>  This Inner Loop Header: Depth=2
	v_ashrrev_i32_e32 v2, 31, v1
	v_lshlrev_b64 v[2:3], 2, v[1:2]
	v_add_co_u32 v2, vcc_lo, s24, v2
	v_add_co_ci_u32_e64 v3, null, s25, v3, vcc_lo
	global_load_dword v2, v[2:3], off
	s_waitcnt vmcnt(0)
	v_subrev_nc_u32_e32 v2, s47, v2
	v_cmp_lt_i32_e64 s18, v2, v18
	v_cmp_ge_i32_e64 s19, v2, v19
	v_cmp_lt_i32_e32 vcc_lo, v2, v19
	s_or_b32 s19, s18, s19
	s_mov_b32 s18, 0
	s_and_saveexec_b32 s49, s19
	s_xor_b32 s19, exec_lo, s49
; %bb.44:                               ;   in Loop: Header=BB22_43 Depth=2
	s_and_b32 s18, vcc_lo, exec_lo
; %bb.45:                               ;   in Loop: Header=BB22_43 Depth=2
	s_andn2_saveexec_b32 s19, s19
; %bb.46:                               ;   in Loop: Header=BB22_43 Depth=2
	v_sub_nc_u32_e32 v3, v2, v18
	s_or_b32 s18, s18, exec_lo
	ds_write_b8 v3, v17 offset:8192
; %bb.47:                               ;   in Loop: Header=BB22_43 Depth=2
	s_or_b32 exec_lo, exec_lo, s19
	s_mov_b32 s19, -1
	s_or_b32 s48, s48, exec_lo
	s_and_saveexec_b32 s49, s18
	s_cbranch_execz .LBB22_42
; %bb.48:                               ;   in Loop: Header=BB22_43 Depth=2
	v_add_nc_u32_e32 v1, 0x200, v1
	s_andn2_b32 s48, s48, exec_lo
	v_cmp_le_i32_e32 vcc_lo, s35, v1
	s_orn2_b32 s19, vcc_lo, exec_lo
	s_branch .LBB22_42
.LBB22_49:                              ;   in Loop: Header=BB22_7 Depth=1
	s_inst_prefetch 0x2
	s_or_b32 exec_lo, exec_lo, s42
	s_and_saveexec_b32 s18, s43
	s_xor_b32 s18, exec_lo, s18
; %bb.50:                               ;   in Loop: Header=BB22_7 Depth=1
	v_min_i32_e32 v20, v2, v20
; %bb.51:                               ;   in Loop: Header=BB22_7 Depth=1
	s_or_b32 exec_lo, exec_lo, s18
.LBB22_52:                              ;   in Loop: Header=BB22_7 Depth=1
	s_or_b32 exec_lo, exec_lo, s20
.LBB22_53:                              ;   in Loop: Header=BB22_7 Depth=1
	ds_bpermute_b32 v1, v12, v20
	s_waitcnt lgkmcnt(0)
	v_min_i32_e32 v1, v1, v20
	ds_bpermute_b32 v2, v13, v1
	s_waitcnt lgkmcnt(0)
	v_min_i32_e32 v1, v2, v1
	;; [unrolled: 3-line block ×3, first 2 shown]
	ds_bpermute_b32 v2, v15, v1
	s_and_saveexec_b32 s18, s6
	s_cbranch_execz .LBB22_58
; %bb.54:                               ;   in Loop: Header=BB22_7 Depth=1
	s_waitcnt lgkmcnt(0)
	v_min_i32_e32 v1, v2, v1
	s_mov_b32 s20, exec_lo
	s_brev_b32 s19, -2
.LBB22_55:                              ;   Parent Loop BB22_7 Depth=1
                                        ; =>  This Inner Loop Header: Depth=2
	s_ff1_i32_b32 s35, s20
	v_readlane_b32 s42, v1, s35
	s_lshl_b32 s35, 1, s35
	s_andn2_b32 s20, s20, s35
	s_min_i32 s19, s19, s42
	s_cmp_lg_u32 s20, 0
	s_cbranch_scc1 .LBB22_55
; %bb.56:                               ;   in Loop: Header=BB22_7 Depth=1
	v_mbcnt_lo_u32_b32 v1, exec_lo, 0
	s_mov_b32 s20, exec_lo
	v_cmpx_eq_u32_e32 0, v1
	s_xor_b32 s20, exec_lo, s20
; %bb.57:                               ;   in Loop: Header=BB22_7 Depth=1
	v_mov_b32_e32 v1, s19
	ds_min_i32 v8, v1 offset:10240
.LBB22_58:                              ;   in Loop: Header=BB22_7 Depth=1
	s_or_b32 exec_lo, exec_lo, s18
	v_add_nc_u32_e32 v1, s46, v18
	s_waitcnt lgkmcnt(0)
	v_mov_b32_e32 v2, v0
	s_mov_b32 s18, 0
	s_waitcnt_vscnt null, 0x0
	s_barrier
	buffer_gl0_inv
	s_branch .LBB22_60
.LBB22_59:                              ;   in Loop: Header=BB22_60 Depth=2
	s_or_b32 exec_lo, exec_lo, s19
	s_waitcnt lgkmcnt(0)
	s_waitcnt_vscnt null, 0x0
	s_barrier
	buffer_gl0_inv
	ds_read_b32 v3, v8 offset:60
	v_add_nc_u32_e32 v4, 0x200, v2
	v_cmp_lt_u32_e32 vcc_lo, 0x5ff, v2
	v_mov_b32_e32 v2, v4
	s_or_b32 s18, vcc_lo, s18
	s_waitcnt lgkmcnt(0)
	v_add_nc_u32_e32 v16, v3, v16
	s_andn2_b32 exec_lo, exec_lo, s18
	s_cbranch_execz .LBB22_6
.LBB22_60:                              ;   Parent Loop BB22_7 Depth=1
                                        ; =>  This Inner Loop Header: Depth=2
	ds_read_u8 v30, v2 offset:8192
	s_waitcnt lgkmcnt(0)
	s_barrier
	buffer_gl0_inv
	v_cmp_ne_u16_e32 vcc_lo, 0, v30
	s_bcnt1_i32_b32 s19, vcc_lo
	v_mov_b32_e32 v3, s19
	s_mov_b32 s19, exec_lo
	ds_write_b32 v10, v3
	s_waitcnt lgkmcnt(0)
	s_barrier
	buffer_gl0_inv
	ds_read_b128 v[18:21], v8
	ds_read_b128 v[22:25], v8 offset:16
	v_and_b32_e32 v3, vcc_lo, v11
	ds_read_b128 v[26:29], v8 offset:32
	s_waitcnt lgkmcnt(2)
	v_cndmask_b32_e64 v4, v18, 0, s2
	v_cndmask_b32_e64 v18, v19, 0, s3
	;; [unrolled: 1-line block ×4, first 2 shown]
	s_waitcnt lgkmcnt(1)
	v_cndmask_b32_e64 v22, v22, 0, s7
	v_bcnt_u32_b32 v20, v3, v4
	ds_read_b96 v[3:5], v8 offset:48
	v_add3_u32 v18, v20, v18, v19
	v_cndmask_b32_e64 v19, v23, 0, s8
	v_cndmask_b32_e64 v20, v24, 0, s9
	v_add3_u32 v18, v18, v21, v22
	v_cndmask_b32_e64 v21, v25, 0, s10
	s_waitcnt lgkmcnt(1)
	v_cndmask_b32_e64 v22, v26, 0, s11
	v_add3_u32 v18, v18, v19, v20
	v_cndmask_b32_e64 v19, v27, 0, s12
	v_cndmask_b32_e64 v20, v28, 0, s13
	v_add3_u32 v18, v18, v21, v22
	v_cndmask_b32_e64 v21, v29, 0, s14
	s_waitcnt lgkmcnt(0)
	v_cndmask_b32_e64 v3, v3, 0, s15
	v_cndmask_b32_e64 v4, v4, 0, s16
	;; [unrolled: 1-line block ×3, first 2 shown]
	v_add3_u32 v18, v18, v19, v20
	v_add3_u32 v3, v18, v21, v3
	v_and_b32_e32 v18, 1, v30
	v_add3_u32 v3, v3, v4, v5
	v_cmpx_eq_u32_e32 1, v18
	s_cbranch_execz .LBB22_62
; %bb.61:                               ;   in Loop: Header=BB22_60 Depth=2
	v_add_nc_u32_e32 v4, v3, v16
	v_add_nc_u32_e32 v18, v1, v2
	v_ashrrev_i32_e32 v5, 31, v4
	v_lshlrev_b64 v[4:5], 2, v[4:5]
	v_add_co_u32 v4, vcc_lo, s28, v4
	v_add_co_ci_u32_e64 v5, null, s29, v5, vcc_lo
	global_store_dword v[4:5], v18, off offset:-4
.LBB22_62:                              ;   in Loop: Header=BB22_60 Depth=2
	s_or_b32 exec_lo, exec_lo, s19
	s_and_saveexec_b32 s19, s1
	s_cbranch_execz .LBB22_59
; %bb.63:                               ;   in Loop: Header=BB22_60 Depth=2
	ds_write_b32 v8, v3 offset:60
	s_branch .LBB22_59
.LBB22_64:
	s_endpgm
	.section	.rodata,"a",@progbits
	.p2align	6, 0x0
	.amdhsa_kernel _ZN9rocsparseL45csrgemm_symbolic_fill_block_per_row_multipassILj512ELj16ELj2048ELj32EiiEEvT4_PKS1_S3_PKT3_S3_S6_S3_S6_S3_S6_PS1_PS4_21rocsparse_index_base_S9_S9_S9_bb
		.amdhsa_group_segment_fixed_size 10244
		.amdhsa_private_segment_fixed_size 0
		.amdhsa_kernarg_size 116
		.amdhsa_user_sgpr_count 6
		.amdhsa_user_sgpr_private_segment_buffer 1
		.amdhsa_user_sgpr_dispatch_ptr 0
		.amdhsa_user_sgpr_queue_ptr 0
		.amdhsa_user_sgpr_kernarg_segment_ptr 1
		.amdhsa_user_sgpr_dispatch_id 0
		.amdhsa_user_sgpr_flat_scratch_init 0
		.amdhsa_user_sgpr_private_segment_size 0
		.amdhsa_wavefront_size32 1
		.amdhsa_uses_dynamic_stack 0
		.amdhsa_system_sgpr_private_segment_wavefront_offset 0
		.amdhsa_system_sgpr_workgroup_id_x 1
		.amdhsa_system_sgpr_workgroup_id_y 0
		.amdhsa_system_sgpr_workgroup_id_z 0
		.amdhsa_system_sgpr_workgroup_info 0
		.amdhsa_system_vgpr_workitem_id 0
		.amdhsa_next_free_vgpr 31
		.amdhsa_next_free_sgpr 52
		.amdhsa_reserve_vcc 1
		.amdhsa_reserve_flat_scratch 0
		.amdhsa_float_round_mode_32 0
		.amdhsa_float_round_mode_16_64 0
		.amdhsa_float_denorm_mode_32 3
		.amdhsa_float_denorm_mode_16_64 3
		.amdhsa_dx10_clamp 1
		.amdhsa_ieee_mode 1
		.amdhsa_fp16_overflow 0
		.amdhsa_workgroup_processor_mode 1
		.amdhsa_memory_ordered 1
		.amdhsa_forward_progress 1
		.amdhsa_shared_vgpr_count 0
		.amdhsa_exception_fp_ieee_invalid_op 0
		.amdhsa_exception_fp_denorm_src 0
		.amdhsa_exception_fp_ieee_div_zero 0
		.amdhsa_exception_fp_ieee_overflow 0
		.amdhsa_exception_fp_ieee_underflow 0
		.amdhsa_exception_fp_ieee_inexact 0
		.amdhsa_exception_int_div_zero 0
	.end_amdhsa_kernel
	.section	.text._ZN9rocsparseL45csrgemm_symbolic_fill_block_per_row_multipassILj512ELj16ELj2048ELj32EiiEEvT4_PKS1_S3_PKT3_S3_S6_S3_S6_S3_S6_PS1_PS4_21rocsparse_index_base_S9_S9_S9_bb,"axG",@progbits,_ZN9rocsparseL45csrgemm_symbolic_fill_block_per_row_multipassILj512ELj16ELj2048ELj32EiiEEvT4_PKS1_S3_PKT3_S3_S6_S3_S6_S3_S6_PS1_PS4_21rocsparse_index_base_S9_S9_S9_bb,comdat
.Lfunc_end22:
	.size	_ZN9rocsparseL45csrgemm_symbolic_fill_block_per_row_multipassILj512ELj16ELj2048ELj32EiiEEvT4_PKS1_S3_PKT3_S3_S6_S3_S6_S3_S6_PS1_PS4_21rocsparse_index_base_S9_S9_S9_bb, .Lfunc_end22-_ZN9rocsparseL45csrgemm_symbolic_fill_block_per_row_multipassILj512ELj16ELj2048ELj32EiiEEvT4_PKS1_S3_PKT3_S3_S6_S3_S6_S3_S6_PS1_PS4_21rocsparse_index_base_S9_S9_S9_bb
                                        ; -- End function
	.set _ZN9rocsparseL45csrgemm_symbolic_fill_block_per_row_multipassILj512ELj16ELj2048ELj32EiiEEvT4_PKS1_S3_PKT3_S3_S6_S3_S6_S3_S6_PS1_PS4_21rocsparse_index_base_S9_S9_S9_bb.num_vgpr, 31
	.set _ZN9rocsparseL45csrgemm_symbolic_fill_block_per_row_multipassILj512ELj16ELj2048ELj32EiiEEvT4_PKS1_S3_PKT3_S3_S6_S3_S6_S3_S6_PS1_PS4_21rocsparse_index_base_S9_S9_S9_bb.num_agpr, 0
	.set _ZN9rocsparseL45csrgemm_symbolic_fill_block_per_row_multipassILj512ELj16ELj2048ELj32EiiEEvT4_PKS1_S3_PKT3_S3_S6_S3_S6_S3_S6_PS1_PS4_21rocsparse_index_base_S9_S9_S9_bb.numbered_sgpr, 52
	.set _ZN9rocsparseL45csrgemm_symbolic_fill_block_per_row_multipassILj512ELj16ELj2048ELj32EiiEEvT4_PKS1_S3_PKT3_S3_S6_S3_S6_S3_S6_PS1_PS4_21rocsparse_index_base_S9_S9_S9_bb.num_named_barrier, 0
	.set _ZN9rocsparseL45csrgemm_symbolic_fill_block_per_row_multipassILj512ELj16ELj2048ELj32EiiEEvT4_PKS1_S3_PKT3_S3_S6_S3_S6_S3_S6_PS1_PS4_21rocsparse_index_base_S9_S9_S9_bb.private_seg_size, 0
	.set _ZN9rocsparseL45csrgemm_symbolic_fill_block_per_row_multipassILj512ELj16ELj2048ELj32EiiEEvT4_PKS1_S3_PKT3_S3_S6_S3_S6_S3_S6_PS1_PS4_21rocsparse_index_base_S9_S9_S9_bb.uses_vcc, 1
	.set _ZN9rocsparseL45csrgemm_symbolic_fill_block_per_row_multipassILj512ELj16ELj2048ELj32EiiEEvT4_PKS1_S3_PKT3_S3_S6_S3_S6_S3_S6_PS1_PS4_21rocsparse_index_base_S9_S9_S9_bb.uses_flat_scratch, 0
	.set _ZN9rocsparseL45csrgemm_symbolic_fill_block_per_row_multipassILj512ELj16ELj2048ELj32EiiEEvT4_PKS1_S3_PKT3_S3_S6_S3_S6_S3_S6_PS1_PS4_21rocsparse_index_base_S9_S9_S9_bb.has_dyn_sized_stack, 0
	.set _ZN9rocsparseL45csrgemm_symbolic_fill_block_per_row_multipassILj512ELj16ELj2048ELj32EiiEEvT4_PKS1_S3_PKT3_S3_S6_S3_S6_S3_S6_PS1_PS4_21rocsparse_index_base_S9_S9_S9_bb.has_recursion, 0
	.set _ZN9rocsparseL45csrgemm_symbolic_fill_block_per_row_multipassILj512ELj16ELj2048ELj32EiiEEvT4_PKS1_S3_PKT3_S3_S6_S3_S6_S3_S6_PS1_PS4_21rocsparse_index_base_S9_S9_S9_bb.has_indirect_call, 0
	.section	.AMDGPU.csdata,"",@progbits
; Kernel info:
; codeLenInByte = 2448
; TotalNumSgprs: 54
; NumVgprs: 31
; ScratchSize: 0
; MemoryBound: 0
; FloatMode: 240
; IeeeMode: 1
; LDSByteSize: 10244 bytes/workgroup (compile time only)
; SGPRBlocks: 0
; VGPRBlocks: 3
; NumSGPRsForWavesPerEU: 54
; NumVGPRsForWavesPerEU: 31
; Occupancy: 16
; WaveLimiterHint : 1
; COMPUTE_PGM_RSRC2:SCRATCH_EN: 0
; COMPUTE_PGM_RSRC2:USER_SGPR: 6
; COMPUTE_PGM_RSRC2:TRAP_HANDLER: 0
; COMPUTE_PGM_RSRC2:TGID_X_EN: 1
; COMPUTE_PGM_RSRC2:TGID_Y_EN: 0
; COMPUTE_PGM_RSRC2:TGID_Z_EN: 0
; COMPUTE_PGM_RSRC2:TIDIG_COMP_CNT: 0
	.section	.text._ZN9rocsparseL45csrgemm_symbolic_fill_block_per_row_multipassILj512ELj16ELj2048ELj64EiiEEvT4_PKS1_S3_PKT3_S3_S6_S3_S6_S3_S6_PS1_PS4_21rocsparse_index_base_S9_S9_S9_bb,"axG",@progbits,_ZN9rocsparseL45csrgemm_symbolic_fill_block_per_row_multipassILj512ELj16ELj2048ELj64EiiEEvT4_PKS1_S3_PKT3_S3_S6_S3_S6_S3_S6_PS1_PS4_21rocsparse_index_base_S9_S9_S9_bb,comdat
	.globl	_ZN9rocsparseL45csrgemm_symbolic_fill_block_per_row_multipassILj512ELj16ELj2048ELj64EiiEEvT4_PKS1_S3_PKT3_S3_S6_S3_S6_S3_S6_PS1_PS4_21rocsparse_index_base_S9_S9_S9_bb ; -- Begin function _ZN9rocsparseL45csrgemm_symbolic_fill_block_per_row_multipassILj512ELj16ELj2048ELj64EiiEEvT4_PKS1_S3_PKT3_S3_S6_S3_S6_S3_S6_PS1_PS4_21rocsparse_index_base_S9_S9_S9_bb
	.p2align	8
	.type	_ZN9rocsparseL45csrgemm_symbolic_fill_block_per_row_multipassILj512ELj16ELj2048ELj64EiiEEvT4_PKS1_S3_PKT3_S3_S6_S3_S6_S3_S6_PS1_PS4_21rocsparse_index_base_S9_S9_S9_bb,@function
_ZN9rocsparseL45csrgemm_symbolic_fill_block_per_row_multipassILj512ELj16ELj2048ELj64EiiEEvT4_PKS1_S3_PKT3_S3_S6_S3_S6_S3_S6_PS1_PS4_21rocsparse_index_base_S9_S9_S9_bb: ; @_ZN9rocsparseL45csrgemm_symbolic_fill_block_per_row_multipassILj512ELj16ELj2048ELj64EiiEEvT4_PKS1_S3_PKT3_S3_S6_S3_S6_S3_S6_PS1_PS4_21rocsparse_index_base_S9_S9_S9_bb
; %bb.0:
	s_clause 0x2
	s_load_dwordx4 s[12:15], s[4:5], 0x8
	s_load_dword s2, s[4:5], 0x70
	s_load_dwordx2 s[0:1], s[4:5], 0x18
	s_waitcnt lgkmcnt(0)
	s_load_dword s3, s[12:13], 0x0
	s_load_dwordx4 s[36:39], s[4:5], 0x60
	s_bitcmp1_b32 s2, 0
	s_mov_b32 s13, 0
	s_cselect_b32 s10, -1, 0
	s_waitcnt lgkmcnt(0)
	s_add_i32 s12, s3, s6
	s_lshl_b64 s[6:7], s[12:13], 2
	s_add_u32 s6, s14, s6
	s_addc_u32 s7, s15, s7
	s_bitcmp0_b32 s2, 0
	s_load_dword s8, s[6:7], 0x0
	s_mov_b32 s7, 0
	s_cbranch_scc0 .LBB23_3
; %bb.1:
	s_andn2_b32 vcc_lo, exec_lo, s10
	s_cbranch_vccz .LBB23_4
.LBB23_2:
	s_load_dword s33, s[4:5], 0x0
	s_waitcnt lgkmcnt(0)
	s_cmp_lt_i32 s33, 1
	s_cbranch_scc0 .LBB23_5
	s_branch .LBB23_64
.LBB23_3:
	s_waitcnt lgkmcnt(0)
	s_ashr_i32 s9, s8, 31
	s_lshl_b64 s[6:7], s[8:9], 2
	s_add_u32 s6, s0, s6
	s_addc_u32 s7, s1, s7
	s_load_dword s3, s[6:7], 0x0
	s_waitcnt lgkmcnt(0)
	s_sub_i32 s7, s3, s36
	s_andn2_b32 vcc_lo, exec_lo, s10
	s_cbranch_vccnz .LBB23_2
.LBB23_4:
	s_waitcnt lgkmcnt(0)
	s_ashr_i32 s9, s8, 31
	s_lshl_b64 s[12:13], s[8:9], 2
	s_add_u32 s0, s0, s12
	s_addc_u32 s1, s1, s13
	s_load_dword s0, s[0:1], 0x4
	s_waitcnt lgkmcnt(0)
	s_sub_i32 s13, s0, s36
	s_load_dword s33, s[4:5], 0x0
	s_waitcnt lgkmcnt(0)
	s_cmp_lt_i32 s33, 1
	s_cbranch_scc1 .LBB23_64
.LBB23_5:
	s_clause 0x1
	s_load_dwordx8 s[16:23], s[4:5], 0x40
	s_load_dwordx8 s[24:31], s[4:5], 0x20
	v_mbcnt_lo_u32_b32 v2, -1, 0
	s_bitcmp1_b32 s2, 8
	v_lshrrev_b32_e32 v1, 4, v0
	s_cselect_b32 s34, -1, 0
	s_ashr_i32 s9, s8, 31
	v_xor_b32_e32 v3, 8, v2
	s_lshl_b64 s[14:15], s[8:9], 2
	v_xor_b32_e32 v4, 4, v2
	v_add_nc_u32_e32 v9, s7, v1
	v_xor_b32_e32 v5, 2, v2
	v_and_b32_e32 v10, 28, v1
	v_xor_b32_e32 v11, 1, v2
	v_and_b32_e32 v6, 15, v0
	v_xor_b32_e32 v12, 31, v2
	v_cmp_gt_i32_e32 vcc_lo, s13, v9
	v_cmp_eq_u32_e64 s0, 0, v0
	v_subrev_nc_u32_e32 v7, s39, v0
	v_mov_b32_e32 v8, 0
	s_waitcnt lgkmcnt(0)
	s_add_u32 s8, s18, s14
	s_addc_u32 s9, s19, s15
	v_cmp_eq_u32_e64 s1, 0x1ff, v0
	s_load_dword s9, s[8:9], 0x0
	v_cmp_gt_i32_e64 s8, 32, v3
	v_cmp_gt_u32_e64 s2, 64, v0
	v_cmp_gt_u32_e64 s3, 0x80, v0
	v_cmp_gt_u32_e64 s4, 0xc0, v0
	v_cmp_gt_u32_e64 s5, 0x100, v0
	v_cndmask_b32_e64 v1, v2, v3, s8
	v_cmp_gt_i32_e64 s8, 32, v4
	v_cmp_gt_u32_e64 s6, 0x140, v0
	v_cmp_eq_u32_e64 s7, 15, v6
	v_mov_b32_e32 v19, 0x800
	v_mov_b32_e32 v17, 1
	v_cndmask_b32_e64 v3, v2, v4, s8
	v_cmp_gt_i32_e64 s8, 32, v5
	v_mov_b32_e32 v18, 0
	s_mov_b32 s19, -1
	v_lshlrev_b32_e32 v13, 2, v3
	v_cndmask_b32_e64 v4, v2, v5, s8
	v_cmp_gt_i32_e64 s8, 32, v11
	s_waitcnt lgkmcnt(0)
	s_sub_i32 s11, s9, s38
	v_cmp_gt_u32_e64 s9, 0x1c0, v0
	v_mov_b32_e32 v16, s11
	v_lshlrev_b32_e32 v14, 2, v4
	v_cndmask_b32_e64 v2, v2, v11, s8
	v_lshrrev_b32_e64 v11, v12, -1
	v_lshlrev_b32_e32 v12, 2, v1
	v_cmp_gt_u32_e64 s8, 0x180, v0
	s_add_u32 s14, s30, s14
	v_lshlrev_b32_e32 v15, 2, v2
	s_addc_u32 s15, s31, s15
	s_and_b32 s18, s10, vcc_lo
	s_branch .LBB23_7
.LBB23_6:                               ;   in Loop: Header=BB23_7 Depth=1
	s_or_b32 exec_lo, exec_lo, s10
	ds_read_b32 v18, v8 offset:10240
	s_waitcnt lgkmcnt(0)
	s_barrier
	buffer_gl0_inv
	v_cmp_le_i32_e32 vcc_lo, s33, v18
	v_add_nc_u32_e32 v19, 0x800, v18
	s_cbranch_vccnz .LBB23_64
.LBB23_7:                               ; =>This Loop Header: Depth=1
                                        ;     Child Loop BB23_16 Depth 2
                                        ;       Child Loop BB23_22 Depth 3
                                        ;     Child Loop BB23_43 Depth 2
                                        ;     Child Loop BB23_55 Depth 2
	;; [unrolled: 1-line block ×3, first 2 shown]
	s_and_saveexec_b32 s10, s19
	s_cbranch_execnz .LBB23_34
; %bb.8:                                ;   in Loop: Header=BB23_7 Depth=1
	s_or_b32 exec_lo, exec_lo, s10
	s_and_saveexec_b32 s10, s19
	s_cbranch_execnz .LBB23_35
.LBB23_9:                               ;   in Loop: Header=BB23_7 Depth=1
	s_or_b32 exec_lo, exec_lo, s10
	s_and_saveexec_b32 s10, s19
	s_cbranch_execnz .LBB23_36
.LBB23_10:                              ;   in Loop: Header=BB23_7 Depth=1
	s_or_b32 exec_lo, exec_lo, s10
	s_and_saveexec_b32 s10, s19
	s_cbranch_execnz .LBB23_37
.LBB23_11:                              ;   in Loop: Header=BB23_7 Depth=1
	s_or_b32 exec_lo, exec_lo, s10
	s_and_saveexec_b32 s10, s0
.LBB23_12:                              ;   in Loop: Header=BB23_7 Depth=1
	v_mov_b32_e32 v1, s33
	ds_write_b32 v8, v1 offset:10240
.LBB23_13:                              ;   in Loop: Header=BB23_7 Depth=1
	s_or_b32 exec_lo, exec_lo, s10
	v_mov_b32_e32 v20, s33
	s_waitcnt lgkmcnt(0)
	s_barrier
	buffer_gl0_inv
	s_and_saveexec_b32 s30, s18
	s_cbranch_execz .LBB23_39
; %bb.14:                               ;   in Loop: Header=BB23_7 Depth=1
	v_cmp_ne_u32_e64 s10, 0, v18
	v_mov_b32_e32 v20, s33
	v_mov_b32_e32 v1, v9
	s_mov_b32 s31, 0
	s_branch .LBB23_16
.LBB23_15:                              ;   in Loop: Header=BB23_16 Depth=2
	s_or_b32 exec_lo, exec_lo, s11
	v_add_nc_u32_e32 v1, 32, v1
	v_cmp_le_i32_e32 vcc_lo, s13, v1
	s_or_b32 s31, vcc_lo, s31
	s_andn2_b32 exec_lo, exec_lo, s31
	s_cbranch_execz .LBB23_38
.LBB23_16:                              ;   Parent Loop BB23_7 Depth=1
                                        ; =>  This Loop Header: Depth=2
                                        ;       Child Loop BB23_22 Depth 3
	v_ashrrev_i32_e32 v2, 31, v1
	v_lshlrev_b64 v[2:3], 2, v[1:2]
	v_add_co_u32 v4, vcc_lo, s24, v2
	s_waitcnt lgkmcnt(0)
	v_add_co_ci_u32_e64 v5, null, s25, v3, vcc_lo
	s_and_b32 vcc_lo, exec_lo, s10
	global_load_dword v4, v[4:5], off
	s_waitcnt vmcnt(0)
	v_subrev_nc_u32_e32 v4, s36, v4
	v_ashrrev_i32_e32 v5, 31, v4
	s_cbranch_vccz .LBB23_33
; %bb.17:                               ;   in Loop: Header=BB23_16 Depth=2
	v_add_co_u32 v21, vcc_lo, s22, v2
	v_add_co_ci_u32_e64 v22, null, s23, v3, vcc_lo
	global_load_dword v21, v[21:22], off
	s_cbranch_execnz .LBB23_19
.LBB23_18:                              ;   in Loop: Header=BB23_16 Depth=2
	s_waitcnt vmcnt(0)
	v_lshlrev_b64 v[21:22], 2, v[4:5]
	v_add_co_u32 v21, vcc_lo, s26, v21
	v_add_co_ci_u32_e64 v22, null, s27, v22, vcc_lo
	global_load_dword v21, v[21:22], off
	s_waitcnt vmcnt(0)
	v_subrev_nc_u32_e32 v21, s37, v21
.LBB23_19:                              ;   in Loop: Header=BB23_16 Depth=2
	v_lshlrev_b64 v[4:5], 2, v[4:5]
	s_waitcnt vmcnt(0)
	v_add_nc_u32_e32 v21, v21, v6
	s_mov_b32 s35, exec_lo
	v_add_co_u32 v4, vcc_lo, s26, v4
	v_add_co_ci_u32_e64 v5, null, s27, v5, vcc_lo
	global_load_dword v4, v[4:5], off offset:4
	s_waitcnt vmcnt(0)
	v_subrev_nc_u32_e32 v22, s37, v4
	v_cmpx_lt_i32_e64 v21, v22
	s_cbranch_execz .LBB23_31
; %bb.20:                               ;   in Loop: Header=BB23_16 Depth=2
	v_mov_b32_e32 v23, v21
	s_mov_b32 s41, 0
                                        ; implicit-def: $sgpr40
                                        ; implicit-def: $sgpr42
	s_inst_prefetch 0x1
	s_branch .LBB23_22
	.p2align	6
.LBB23_21:                              ;   in Loop: Header=BB23_22 Depth=3
	s_or_b32 exec_lo, exec_lo, s43
	s_and_b32 s11, exec_lo, s12
	s_or_b32 s41, s11, s41
	s_andn2_b32 s11, s40, exec_lo
	s_and_b32 s12, s42, exec_lo
	s_or_b32 s40, s11, s12
	s_andn2_b32 exec_lo, exec_lo, s41
	s_cbranch_execz .LBB23_28
.LBB23_22:                              ;   Parent Loop BB23_7 Depth=1
                                        ;     Parent Loop BB23_16 Depth=2
                                        ; =>    This Inner Loop Header: Depth=3
	v_mov_b32_e32 v4, v23
	v_ashrrev_i32_e32 v5, 31, v4
	v_lshlrev_b64 v[23:24], 2, v[4:5]
	v_add_co_u32 v23, vcc_lo, s28, v23
	v_add_co_ci_u32_e64 v24, null, s29, v24, vcc_lo
	global_load_dword v5, v[23:24], off
	s_waitcnt vmcnt(0)
	v_subrev_nc_u32_e32 v5, s37, v5
	v_cmp_lt_i32_e64 s11, v5, v18
	v_cmp_ge_i32_e64 s12, v5, v19
	v_cmp_lt_i32_e32 vcc_lo, v5, v19
	s_or_b32 s12, s11, s12
	s_mov_b32 s11, 0
	s_and_saveexec_b32 s43, s12
	s_xor_b32 s12, exec_lo, s43
; %bb.23:                               ;   in Loop: Header=BB23_22 Depth=3
	s_and_b32 s11, vcc_lo, exec_lo
; %bb.24:                               ;   in Loop: Header=BB23_22 Depth=3
	s_andn2_saveexec_b32 s12, s12
; %bb.25:                               ;   in Loop: Header=BB23_22 Depth=3
	v_sub_nc_u32_e32 v23, v5, v18
	s_or_b32 s11, s11, exec_lo
	ds_write_b8 v23, v17 offset:8192
; %bb.26:                               ;   in Loop: Header=BB23_22 Depth=3
	s_or_b32 exec_lo, exec_lo, s12
	s_mov_b32 s12, -1
	s_or_b32 s42, s42, exec_lo
                                        ; implicit-def: $vgpr23
	s_and_saveexec_b32 s43, s11
	s_cbranch_execz .LBB23_21
; %bb.27:                               ;   in Loop: Header=BB23_22 Depth=3
	v_add_nc_u32_e32 v23, 16, v4
	s_andn2_b32 s42, s42, exec_lo
	v_cmp_ge_i32_e32 vcc_lo, v23, v22
	s_orn2_b32 s12, vcc_lo, exec_lo
	s_branch .LBB23_21
.LBB23_28:                              ;   in Loop: Header=BB23_16 Depth=2
	s_inst_prefetch 0x2
	s_or_b32 exec_lo, exec_lo, s41
	s_and_saveexec_b32 s11, s40
	s_xor_b32 s11, exec_lo, s11
; %bb.29:                               ;   in Loop: Header=BB23_16 Depth=2
	v_min_i32_e32 v20, v5, v20
	v_mov_b32_e32 v21, v4
; %bb.30:                               ;   in Loop: Header=BB23_16 Depth=2
	s_or_b32 exec_lo, exec_lo, s11
.LBB23_31:                              ;   in Loop: Header=BB23_16 Depth=2
	s_or_b32 exec_lo, exec_lo, s35
	ds_bpermute_b32 v4, v12, v21
	s_waitcnt lgkmcnt(0)
	v_min_i32_e32 v4, v4, v21
	ds_bpermute_b32 v5, v13, v4
	s_waitcnt lgkmcnt(0)
	v_min_i32_e32 v4, v5, v4
	;; [unrolled: 3-line block ×3, first 2 shown]
	ds_bpermute_b32 v5, v15, v4
	s_and_saveexec_b32 s11, s7
	s_cbranch_execz .LBB23_15
; %bb.32:                               ;   in Loop: Header=BB23_16 Depth=2
	v_add_co_u32 v2, vcc_lo, s22, v2
	s_waitcnt lgkmcnt(0)
	v_min_i32_e32 v4, v5, v4
	v_add_co_ci_u32_e64 v3, null, s23, v3, vcc_lo
	global_store_dword v[2:3], v4, off
	s_branch .LBB23_15
.LBB23_33:                              ;   in Loop: Header=BB23_16 Depth=2
                                        ; implicit-def: $vgpr21
	s_branch .LBB23_18
.LBB23_34:                              ;   in Loop: Header=BB23_7 Depth=1
	ds_write_b8 v0, v8 offset:8192
	s_or_b32 exec_lo, exec_lo, s10
	s_and_saveexec_b32 s10, s19
	s_cbranch_execz .LBB23_9
.LBB23_35:                              ;   in Loop: Header=BB23_7 Depth=1
	ds_write_b8 v0, v8 offset:8704
	s_or_b32 exec_lo, exec_lo, s10
	s_and_saveexec_b32 s10, s19
	s_cbranch_execz .LBB23_10
.LBB23_36:                              ;   in Loop: Header=BB23_7 Depth=1
	ds_write_b8 v0, v8 offset:9216
	s_or_b32 exec_lo, exec_lo, s10
	s_and_saveexec_b32 s10, s19
	s_cbranch_execz .LBB23_11
.LBB23_37:                              ;   in Loop: Header=BB23_7 Depth=1
	ds_write_b8 v0, v8 offset:9728
	s_or_b32 exec_lo, exec_lo, s10
	s_and_saveexec_b32 s10, s0
	s_cbranch_execnz .LBB23_12
	s_branch .LBB23_13
.LBB23_38:                              ;   in Loop: Header=BB23_7 Depth=1
	s_or_b32 exec_lo, exec_lo, s31
.LBB23_39:                              ;   in Loop: Header=BB23_7 Depth=1
	s_or_b32 exec_lo, exec_lo, s30
	s_andn2_b32 vcc_lo, exec_lo, s34
	s_cbranch_vccnz .LBB23_53
; %bb.40:                               ;   in Loop: Header=BB23_7 Depth=1
	s_load_dwordx2 s[10:11], s[14:15], 0x0
	s_mov_b32 s12, exec_lo
	s_waitcnt lgkmcnt(0)
	v_add_nc_u32_e32 v1, s10, v7
	s_sub_i32 s30, s11, s39
	v_cmpx_gt_i32_e64 s30, v1
	s_cbranch_execz .LBB23_52
; %bb.41:                               ;   in Loop: Header=BB23_7 Depth=1
	s_mov_b32 s31, 0
                                        ; implicit-def: $sgpr35
                                        ; implicit-def: $sgpr40
	s_inst_prefetch 0x1
	s_branch .LBB23_43
	.p2align	6
.LBB23_42:                              ;   in Loop: Header=BB23_43 Depth=2
	s_or_b32 exec_lo, exec_lo, s41
	s_and_b32 s10, exec_lo, s11
	s_or_b32 s31, s10, s31
	s_andn2_b32 s10, s35, exec_lo
	s_and_b32 s11, s40, exec_lo
	s_or_b32 s35, s10, s11
	s_andn2_b32 exec_lo, exec_lo, s31
	s_cbranch_execz .LBB23_49
.LBB23_43:                              ;   Parent Loop BB23_7 Depth=1
                                        ; =>  This Inner Loop Header: Depth=2
	v_ashrrev_i32_e32 v2, 31, v1
	v_lshlrev_b64 v[2:3], 2, v[1:2]
	v_add_co_u32 v2, vcc_lo, s16, v2
	v_add_co_ci_u32_e64 v3, null, s17, v3, vcc_lo
	global_load_dword v2, v[2:3], off
	s_waitcnt vmcnt(0)
	v_subrev_nc_u32_e32 v2, s39, v2
	v_cmp_lt_i32_e64 s10, v2, v18
	v_cmp_ge_i32_e64 s11, v2, v19
	v_cmp_lt_i32_e32 vcc_lo, v2, v19
	s_or_b32 s11, s10, s11
	s_mov_b32 s10, 0
	s_and_saveexec_b32 s41, s11
	s_xor_b32 s11, exec_lo, s41
; %bb.44:                               ;   in Loop: Header=BB23_43 Depth=2
	s_and_b32 s10, vcc_lo, exec_lo
; %bb.45:                               ;   in Loop: Header=BB23_43 Depth=2
	s_andn2_saveexec_b32 s11, s11
; %bb.46:                               ;   in Loop: Header=BB23_43 Depth=2
	v_sub_nc_u32_e32 v3, v2, v18
	s_or_b32 s10, s10, exec_lo
	ds_write_b8 v3, v17 offset:8192
; %bb.47:                               ;   in Loop: Header=BB23_43 Depth=2
	s_or_b32 exec_lo, exec_lo, s11
	s_mov_b32 s11, -1
	s_or_b32 s40, s40, exec_lo
	s_and_saveexec_b32 s41, s10
	s_cbranch_execz .LBB23_42
; %bb.48:                               ;   in Loop: Header=BB23_43 Depth=2
	v_add_nc_u32_e32 v1, 0x200, v1
	s_andn2_b32 s40, s40, exec_lo
	v_cmp_le_i32_e32 vcc_lo, s30, v1
	s_orn2_b32 s11, vcc_lo, exec_lo
	s_branch .LBB23_42
.LBB23_49:                              ;   in Loop: Header=BB23_7 Depth=1
	s_inst_prefetch 0x2
	s_or_b32 exec_lo, exec_lo, s31
	s_and_saveexec_b32 s10, s35
	s_xor_b32 s10, exec_lo, s10
; %bb.50:                               ;   in Loop: Header=BB23_7 Depth=1
	v_min_i32_e32 v20, v2, v20
; %bb.51:                               ;   in Loop: Header=BB23_7 Depth=1
	s_or_b32 exec_lo, exec_lo, s10
.LBB23_52:                              ;   in Loop: Header=BB23_7 Depth=1
	s_or_b32 exec_lo, exec_lo, s12
.LBB23_53:                              ;   in Loop: Header=BB23_7 Depth=1
	ds_bpermute_b32 v1, v12, v20
	s_waitcnt lgkmcnt(0)
	v_min_i32_e32 v1, v1, v20
	ds_bpermute_b32 v2, v13, v1
	s_waitcnt lgkmcnt(0)
	v_min_i32_e32 v1, v2, v1
	;; [unrolled: 3-line block ×3, first 2 shown]
	ds_bpermute_b32 v2, v15, v1
	s_and_saveexec_b32 s10, s7
	s_cbranch_execz .LBB23_58
; %bb.54:                               ;   in Loop: Header=BB23_7 Depth=1
	s_waitcnt lgkmcnt(0)
	v_min_i32_e32 v1, v2, v1
	s_mov_b32 s12, exec_lo
	s_brev_b32 s11, -2
.LBB23_55:                              ;   Parent Loop BB23_7 Depth=1
                                        ; =>  This Inner Loop Header: Depth=2
	s_ff1_i32_b32 s30, s12
	v_readlane_b32 s31, v1, s30
	s_lshl_b32 s30, 1, s30
	s_andn2_b32 s12, s12, s30
	s_min_i32 s11, s11, s31
	s_cmp_lg_u32 s12, 0
	s_cbranch_scc1 .LBB23_55
; %bb.56:                               ;   in Loop: Header=BB23_7 Depth=1
	v_mbcnt_lo_u32_b32 v1, exec_lo, 0
	s_mov_b32 s12, exec_lo
	v_cmpx_eq_u32_e32 0, v1
	s_xor_b32 s12, exec_lo, s12
; %bb.57:                               ;   in Loop: Header=BB23_7 Depth=1
	v_mov_b32_e32 v1, s11
	ds_min_i32 v8, v1 offset:10240
.LBB23_58:                              ;   in Loop: Header=BB23_7 Depth=1
	s_or_b32 exec_lo, exec_lo, s10
	v_add_nc_u32_e32 v1, s38, v18
	s_waitcnt lgkmcnt(0)
	v_mov_b32_e32 v2, v0
	s_mov_b32 s10, 0
	s_waitcnt_vscnt null, 0x0
	s_barrier
	buffer_gl0_inv
	s_branch .LBB23_60
.LBB23_59:                              ;   in Loop: Header=BB23_60 Depth=2
	s_or_b32 exec_lo, exec_lo, s11
	s_waitcnt lgkmcnt(0)
	s_waitcnt_vscnt null, 0x0
	s_barrier
	buffer_gl0_inv
	ds_read_b32 v3, v8 offset:28
	v_add_nc_u32_e32 v4, 0x200, v2
	v_cmp_lt_u32_e32 vcc_lo, 0x5ff, v2
	v_mov_b32_e32 v2, v4
	s_or_b32 s10, vcc_lo, s10
	s_waitcnt lgkmcnt(0)
	v_add_nc_u32_e32 v16, v3, v16
	s_andn2_b32 exec_lo, exec_lo, s10
	s_cbranch_execz .LBB23_6
.LBB23_60:                              ;   Parent Loop BB23_7 Depth=1
                                        ; =>  This Inner Loop Header: Depth=2
	ds_read_u8 v22, v2 offset:8192
	s_waitcnt lgkmcnt(0)
	s_barrier
	buffer_gl0_inv
	v_cmp_ne_u16_e32 vcc_lo, 0, v22
	s_bcnt1_i32_b32 s11, vcc_lo
	v_and_b32_e32 v23, vcc_lo, v11
	v_mov_b32_e32 v3, s11
	s_mov_b32 s11, exec_lo
	ds_write_b32 v10, v3
	s_waitcnt lgkmcnt(0)
	s_barrier
	buffer_gl0_inv
	ds_read_b128 v[18:21], v8
	ds_read_b96 v[3:5], v8 offset:16
	s_waitcnt lgkmcnt(1)
	v_cndmask_b32_e64 v18, v18, 0, s2
	v_cndmask_b32_e64 v19, v19, 0, s3
	;; [unrolled: 1-line block ×4, first 2 shown]
	s_waitcnt lgkmcnt(0)
	v_cndmask_b32_e64 v3, v3, 0, s6
	v_bcnt_u32_b32 v18, v23, v18
	v_cndmask_b32_e64 v4, v4, 0, s8
	v_cndmask_b32_e64 v5, v5, 0, s9
	v_add3_u32 v18, v18, v19, v20
	v_add3_u32 v3, v18, v21, v3
	v_and_b32_e32 v18, 1, v22
	v_add3_u32 v3, v3, v4, v5
	v_cmpx_eq_u32_e32 1, v18
	s_cbranch_execz .LBB23_62
; %bb.61:                               ;   in Loop: Header=BB23_60 Depth=2
	v_add_nc_u32_e32 v4, v3, v16
	v_add_nc_u32_e32 v18, v1, v2
	v_ashrrev_i32_e32 v5, 31, v4
	v_lshlrev_b64 v[4:5], 2, v[4:5]
	v_add_co_u32 v4, vcc_lo, s20, v4
	v_add_co_ci_u32_e64 v5, null, s21, v5, vcc_lo
	global_store_dword v[4:5], v18, off offset:-4
.LBB23_62:                              ;   in Loop: Header=BB23_60 Depth=2
	s_or_b32 exec_lo, exec_lo, s11
	s_and_saveexec_b32 s11, s1
	s_cbranch_execz .LBB23_59
; %bb.63:                               ;   in Loop: Header=BB23_60 Depth=2
	ds_write_b32 v8, v3 offset:28
	s_branch .LBB23_59
.LBB23_64:
	s_endpgm
	.section	.rodata,"a",@progbits
	.p2align	6, 0x0
	.amdhsa_kernel _ZN9rocsparseL45csrgemm_symbolic_fill_block_per_row_multipassILj512ELj16ELj2048ELj64EiiEEvT4_PKS1_S3_PKT3_S3_S6_S3_S6_S3_S6_PS1_PS4_21rocsparse_index_base_S9_S9_S9_bb
		.amdhsa_group_segment_fixed_size 10244
		.amdhsa_private_segment_fixed_size 0
		.amdhsa_kernarg_size 116
		.amdhsa_user_sgpr_count 6
		.amdhsa_user_sgpr_private_segment_buffer 1
		.amdhsa_user_sgpr_dispatch_ptr 0
		.amdhsa_user_sgpr_queue_ptr 0
		.amdhsa_user_sgpr_kernarg_segment_ptr 1
		.amdhsa_user_sgpr_dispatch_id 0
		.amdhsa_user_sgpr_flat_scratch_init 0
		.amdhsa_user_sgpr_private_segment_size 0
		.amdhsa_wavefront_size32 1
		.amdhsa_uses_dynamic_stack 0
		.amdhsa_system_sgpr_private_segment_wavefront_offset 0
		.amdhsa_system_sgpr_workgroup_id_x 1
		.amdhsa_system_sgpr_workgroup_id_y 0
		.amdhsa_system_sgpr_workgroup_id_z 0
		.amdhsa_system_sgpr_workgroup_info 0
		.amdhsa_system_vgpr_workitem_id 0
		.amdhsa_next_free_vgpr 25
		.amdhsa_next_free_sgpr 44
		.amdhsa_reserve_vcc 1
		.amdhsa_reserve_flat_scratch 0
		.amdhsa_float_round_mode_32 0
		.amdhsa_float_round_mode_16_64 0
		.amdhsa_float_denorm_mode_32 3
		.amdhsa_float_denorm_mode_16_64 3
		.amdhsa_dx10_clamp 1
		.amdhsa_ieee_mode 1
		.amdhsa_fp16_overflow 0
		.amdhsa_workgroup_processor_mode 1
		.amdhsa_memory_ordered 1
		.amdhsa_forward_progress 1
		.amdhsa_shared_vgpr_count 0
		.amdhsa_exception_fp_ieee_invalid_op 0
		.amdhsa_exception_fp_denorm_src 0
		.amdhsa_exception_fp_ieee_div_zero 0
		.amdhsa_exception_fp_ieee_overflow 0
		.amdhsa_exception_fp_ieee_underflow 0
		.amdhsa_exception_fp_ieee_inexact 0
		.amdhsa_exception_int_div_zero 0
	.end_amdhsa_kernel
	.section	.text._ZN9rocsparseL45csrgemm_symbolic_fill_block_per_row_multipassILj512ELj16ELj2048ELj64EiiEEvT4_PKS1_S3_PKT3_S3_S6_S3_S6_S3_S6_PS1_PS4_21rocsparse_index_base_S9_S9_S9_bb,"axG",@progbits,_ZN9rocsparseL45csrgemm_symbolic_fill_block_per_row_multipassILj512ELj16ELj2048ELj64EiiEEvT4_PKS1_S3_PKT3_S3_S6_S3_S6_S3_S6_PS1_PS4_21rocsparse_index_base_S9_S9_S9_bb,comdat
.Lfunc_end23:
	.size	_ZN9rocsparseL45csrgemm_symbolic_fill_block_per_row_multipassILj512ELj16ELj2048ELj64EiiEEvT4_PKS1_S3_PKT3_S3_S6_S3_S6_S3_S6_PS1_PS4_21rocsparse_index_base_S9_S9_S9_bb, .Lfunc_end23-_ZN9rocsparseL45csrgemm_symbolic_fill_block_per_row_multipassILj512ELj16ELj2048ELj64EiiEEvT4_PKS1_S3_PKT3_S3_S6_S3_S6_S3_S6_PS1_PS4_21rocsparse_index_base_S9_S9_S9_bb
                                        ; -- End function
	.set _ZN9rocsparseL45csrgemm_symbolic_fill_block_per_row_multipassILj512ELj16ELj2048ELj64EiiEEvT4_PKS1_S3_PKT3_S3_S6_S3_S6_S3_S6_PS1_PS4_21rocsparse_index_base_S9_S9_S9_bb.num_vgpr, 25
	.set _ZN9rocsparseL45csrgemm_symbolic_fill_block_per_row_multipassILj512ELj16ELj2048ELj64EiiEEvT4_PKS1_S3_PKT3_S3_S6_S3_S6_S3_S6_PS1_PS4_21rocsparse_index_base_S9_S9_S9_bb.num_agpr, 0
	.set _ZN9rocsparseL45csrgemm_symbolic_fill_block_per_row_multipassILj512ELj16ELj2048ELj64EiiEEvT4_PKS1_S3_PKT3_S3_S6_S3_S6_S3_S6_PS1_PS4_21rocsparse_index_base_S9_S9_S9_bb.numbered_sgpr, 44
	.set _ZN9rocsparseL45csrgemm_symbolic_fill_block_per_row_multipassILj512ELj16ELj2048ELj64EiiEEvT4_PKS1_S3_PKT3_S3_S6_S3_S6_S3_S6_PS1_PS4_21rocsparse_index_base_S9_S9_S9_bb.num_named_barrier, 0
	.set _ZN9rocsparseL45csrgemm_symbolic_fill_block_per_row_multipassILj512ELj16ELj2048ELj64EiiEEvT4_PKS1_S3_PKT3_S3_S6_S3_S6_S3_S6_PS1_PS4_21rocsparse_index_base_S9_S9_S9_bb.private_seg_size, 0
	.set _ZN9rocsparseL45csrgemm_symbolic_fill_block_per_row_multipassILj512ELj16ELj2048ELj64EiiEEvT4_PKS1_S3_PKT3_S3_S6_S3_S6_S3_S6_PS1_PS4_21rocsparse_index_base_S9_S9_S9_bb.uses_vcc, 1
	.set _ZN9rocsparseL45csrgemm_symbolic_fill_block_per_row_multipassILj512ELj16ELj2048ELj64EiiEEvT4_PKS1_S3_PKT3_S3_S6_S3_S6_S3_S6_PS1_PS4_21rocsparse_index_base_S9_S9_S9_bb.uses_flat_scratch, 0
	.set _ZN9rocsparseL45csrgemm_symbolic_fill_block_per_row_multipassILj512ELj16ELj2048ELj64EiiEEvT4_PKS1_S3_PKT3_S3_S6_S3_S6_S3_S6_PS1_PS4_21rocsparse_index_base_S9_S9_S9_bb.has_dyn_sized_stack, 0
	.set _ZN9rocsparseL45csrgemm_symbolic_fill_block_per_row_multipassILj512ELj16ELj2048ELj64EiiEEvT4_PKS1_S3_PKT3_S3_S6_S3_S6_S3_S6_PS1_PS4_21rocsparse_index_base_S9_S9_S9_bb.has_recursion, 0
	.set _ZN9rocsparseL45csrgemm_symbolic_fill_block_per_row_multipassILj512ELj16ELj2048ELj64EiiEEvT4_PKS1_S3_PKT3_S3_S6_S3_S6_S3_S6_PS1_PS4_21rocsparse_index_base_S9_S9_S9_bb.has_indirect_call, 0
	.section	.AMDGPU.csdata,"",@progbits
; Kernel info:
; codeLenInByte = 2264
; TotalNumSgprs: 46
; NumVgprs: 25
; ScratchSize: 0
; MemoryBound: 0
; FloatMode: 240
; IeeeMode: 1
; LDSByteSize: 10244 bytes/workgroup (compile time only)
; SGPRBlocks: 0
; VGPRBlocks: 3
; NumSGPRsForWavesPerEU: 46
; NumVGPRsForWavesPerEU: 25
; Occupancy: 16
; WaveLimiterHint : 1
; COMPUTE_PGM_RSRC2:SCRATCH_EN: 0
; COMPUTE_PGM_RSRC2:USER_SGPR: 6
; COMPUTE_PGM_RSRC2:TRAP_HANDLER: 0
; COMPUTE_PGM_RSRC2:TGID_X_EN: 1
; COMPUTE_PGM_RSRC2:TGID_Y_EN: 0
; COMPUTE_PGM_RSRC2:TGID_Z_EN: 0
; COMPUTE_PGM_RSRC2:TIDIG_COMP_CNT: 0
	.section	.text._ZN9rocsparseL34csrgemm_symbolic_max_row_nnz_part1ILj256EliEEvT1_PKT0_PS1_,"axG",@progbits,_ZN9rocsparseL34csrgemm_symbolic_max_row_nnz_part1ILj256EliEEvT1_PKT0_PS1_,comdat
	.globl	_ZN9rocsparseL34csrgemm_symbolic_max_row_nnz_part1ILj256EliEEvT1_PKT0_PS1_ ; -- Begin function _ZN9rocsparseL34csrgemm_symbolic_max_row_nnz_part1ILj256EliEEvT1_PKT0_PS1_
	.p2align	8
	.type	_ZN9rocsparseL34csrgemm_symbolic_max_row_nnz_part1ILj256EliEEvT1_PKT0_PS1_,@function
_ZN9rocsparseL34csrgemm_symbolic_max_row_nnz_part1ILj256EliEEvT1_PKT0_PS1_: ; @_ZN9rocsparseL34csrgemm_symbolic_max_row_nnz_part1ILj256EliEEvT1_PKT0_PS1_
; %bb.0:
	s_clause 0x1
	s_load_dword s7, s[4:5], 0x0
	s_load_dwordx2 s[0:1], s[4:5], 0x10
	v_lshl_or_b32 v1, s6, 8, v0
	v_mov_b32_e32 v3, 0
	s_mov_b32 s8, exec_lo
	s_waitcnt lgkmcnt(0)
	v_cmpx_gt_i32_e64 s7, v1
	s_cbranch_execz .LBB24_4
; %bb.1:
	s_clause 0x1
	s_load_dword s9, s[4:5], 0x18
	s_load_dwordx2 s[2:3], s[4:5], 0x8
	v_mov_b32_e32 v3, 0
	s_mov_b32 s4, 0
	s_waitcnt lgkmcnt(0)
	s_lshl_b32 s5, s9, 8
.LBB24_2:                               ; =>This Inner Loop Header: Depth=1
	v_ashrrev_i32_e32 v2, 31, v1
	v_lshlrev_b64 v[4:5], 3, v[1:2]
	v_add_nc_u32_e32 v1, s5, v1
	v_add_co_u32 v4, vcc_lo, s2, v4
	v_add_co_ci_u32_e64 v5, null, s3, v5, vcc_lo
	v_cmp_le_i32_e32 vcc_lo, s7, v1
	global_load_dwordx4 v[4:7], v[4:5], off
	s_or_b32 s4, vcc_lo, s4
	s_waitcnt vmcnt(0)
	v_sub_nc_u32_e32 v2, v6, v4
	v_max_i32_e32 v3, v3, v2
	s_andn2_b32 exec_lo, exec_lo, s4
	s_cbranch_execnz .LBB24_2
; %bb.3:
	s_or_b32 exec_lo, exec_lo, s4
.LBB24_4:
	s_or_b32 exec_lo, exec_lo, s8
	v_lshlrev_b32_e32 v1, 2, v0
	s_mov_b32 s2, exec_lo
	ds_write_b32 v1, v3
	s_waitcnt lgkmcnt(0)
	s_barrier
	buffer_gl0_inv
	v_cmpx_gt_u32_e32 0x80, v0
	s_cbranch_execz .LBB24_6
; %bb.5:
	ds_read2st64_b32 v[2:3], v1 offset1:2
	s_waitcnt lgkmcnt(0)
	v_max_i32_e32 v2, v2, v3
	ds_write_b32 v1, v2
.LBB24_6:
	s_or_b32 exec_lo, exec_lo, s2
	s_mov_b32 s2, exec_lo
	s_waitcnt lgkmcnt(0)
	s_barrier
	buffer_gl0_inv
	v_cmpx_gt_u32_e32 64, v0
	s_cbranch_execz .LBB24_8
; %bb.7:
	ds_read2st64_b32 v[2:3], v1 offset1:1
	s_waitcnt lgkmcnt(0)
	v_max_i32_e32 v2, v2, v3
	ds_write_b32 v1, v2
.LBB24_8:
	s_or_b32 exec_lo, exec_lo, s2
	s_mov_b32 s2, exec_lo
	s_waitcnt lgkmcnt(0)
	s_barrier
	buffer_gl0_inv
	v_cmpx_gt_u32_e32 32, v0
	s_cbranch_execz .LBB24_10
; %bb.9:
	ds_read2_b32 v[2:3], v1 offset1:32
	s_waitcnt lgkmcnt(0)
	v_max_i32_e32 v2, v2, v3
	ds_write_b32 v1, v2
.LBB24_10:
	s_or_b32 exec_lo, exec_lo, s2
	s_mov_b32 s2, exec_lo
	s_waitcnt lgkmcnt(0)
	s_barrier
	buffer_gl0_inv
	v_cmpx_gt_u32_e32 16, v0
	s_cbranch_execz .LBB24_12
; %bb.11:
	ds_read2_b32 v[2:3], v1 offset1:16
	s_waitcnt lgkmcnt(0)
	v_max_i32_e32 v2, v2, v3
	ds_write_b32 v1, v2
.LBB24_12:
	;; [unrolled: 13-line block ×5, first 2 shown]
	s_or_b32 exec_lo, exec_lo, s2
	v_cmp_eq_u32_e32 vcc_lo, 0, v0
	s_waitcnt lgkmcnt(0)
	s_barrier
	buffer_gl0_inv
	s_and_saveexec_b32 s2, vcc_lo
	s_cbranch_execz .LBB24_20
; %bb.19:
	v_mov_b32_e32 v2, 0
	ds_read_b64 v[0:1], v2
	s_waitcnt lgkmcnt(0)
	v_max_i32_e32 v0, v0, v1
	ds_write_b32 v2, v0
.LBB24_20:
	s_or_b32 exec_lo, exec_lo, s2
	s_waitcnt lgkmcnt(0)
	s_barrier
	buffer_gl0_inv
	s_and_saveexec_b32 s2, vcc_lo
	s_cbranch_execz .LBB24_22
; %bb.21:
	v_mov_b32_e32 v0, 0
	s_mov_b32 s7, 0
	s_lshl_b64 s[2:3], s[6:7], 2
	s_add_u32 s0, s0, s2
	ds_read_b32 v1, v0
	s_addc_u32 s1, s1, s3
	s_waitcnt lgkmcnt(0)
	global_store_dword v0, v1, s[0:1]
.LBB24_22:
	s_endpgm
	.section	.rodata,"a",@progbits
	.p2align	6, 0x0
	.amdhsa_kernel _ZN9rocsparseL34csrgemm_symbolic_max_row_nnz_part1ILj256EliEEvT1_PKT0_PS1_
		.amdhsa_group_segment_fixed_size 1024
		.amdhsa_private_segment_fixed_size 0
		.amdhsa_kernarg_size 280
		.amdhsa_user_sgpr_count 6
		.amdhsa_user_sgpr_private_segment_buffer 1
		.amdhsa_user_sgpr_dispatch_ptr 0
		.amdhsa_user_sgpr_queue_ptr 0
		.amdhsa_user_sgpr_kernarg_segment_ptr 1
		.amdhsa_user_sgpr_dispatch_id 0
		.amdhsa_user_sgpr_flat_scratch_init 0
		.amdhsa_user_sgpr_private_segment_size 0
		.amdhsa_wavefront_size32 1
		.amdhsa_uses_dynamic_stack 0
		.amdhsa_system_sgpr_private_segment_wavefront_offset 0
		.amdhsa_system_sgpr_workgroup_id_x 1
		.amdhsa_system_sgpr_workgroup_id_y 0
		.amdhsa_system_sgpr_workgroup_id_z 0
		.amdhsa_system_sgpr_workgroup_info 0
		.amdhsa_system_vgpr_workitem_id 0
		.amdhsa_next_free_vgpr 8
		.amdhsa_next_free_sgpr 10
		.amdhsa_reserve_vcc 1
		.amdhsa_reserve_flat_scratch 0
		.amdhsa_float_round_mode_32 0
		.amdhsa_float_round_mode_16_64 0
		.amdhsa_float_denorm_mode_32 3
		.amdhsa_float_denorm_mode_16_64 3
		.amdhsa_dx10_clamp 1
		.amdhsa_ieee_mode 1
		.amdhsa_fp16_overflow 0
		.amdhsa_workgroup_processor_mode 1
		.amdhsa_memory_ordered 1
		.amdhsa_forward_progress 1
		.amdhsa_shared_vgpr_count 0
		.amdhsa_exception_fp_ieee_invalid_op 0
		.amdhsa_exception_fp_denorm_src 0
		.amdhsa_exception_fp_ieee_div_zero 0
		.amdhsa_exception_fp_ieee_overflow 0
		.amdhsa_exception_fp_ieee_underflow 0
		.amdhsa_exception_fp_ieee_inexact 0
		.amdhsa_exception_int_div_zero 0
	.end_amdhsa_kernel
	.section	.text._ZN9rocsparseL34csrgemm_symbolic_max_row_nnz_part1ILj256EliEEvT1_PKT0_PS1_,"axG",@progbits,_ZN9rocsparseL34csrgemm_symbolic_max_row_nnz_part1ILj256EliEEvT1_PKT0_PS1_,comdat
.Lfunc_end24:
	.size	_ZN9rocsparseL34csrgemm_symbolic_max_row_nnz_part1ILj256EliEEvT1_PKT0_PS1_, .Lfunc_end24-_ZN9rocsparseL34csrgemm_symbolic_max_row_nnz_part1ILj256EliEEvT1_PKT0_PS1_
                                        ; -- End function
	.set _ZN9rocsparseL34csrgemm_symbolic_max_row_nnz_part1ILj256EliEEvT1_PKT0_PS1_.num_vgpr, 8
	.set _ZN9rocsparseL34csrgemm_symbolic_max_row_nnz_part1ILj256EliEEvT1_PKT0_PS1_.num_agpr, 0
	.set _ZN9rocsparseL34csrgemm_symbolic_max_row_nnz_part1ILj256EliEEvT1_PKT0_PS1_.numbered_sgpr, 10
	.set _ZN9rocsparseL34csrgemm_symbolic_max_row_nnz_part1ILj256EliEEvT1_PKT0_PS1_.num_named_barrier, 0
	.set _ZN9rocsparseL34csrgemm_symbolic_max_row_nnz_part1ILj256EliEEvT1_PKT0_PS1_.private_seg_size, 0
	.set _ZN9rocsparseL34csrgemm_symbolic_max_row_nnz_part1ILj256EliEEvT1_PKT0_PS1_.uses_vcc, 1
	.set _ZN9rocsparseL34csrgemm_symbolic_max_row_nnz_part1ILj256EliEEvT1_PKT0_PS1_.uses_flat_scratch, 0
	.set _ZN9rocsparseL34csrgemm_symbolic_max_row_nnz_part1ILj256EliEEvT1_PKT0_PS1_.has_dyn_sized_stack, 0
	.set _ZN9rocsparseL34csrgemm_symbolic_max_row_nnz_part1ILj256EliEEvT1_PKT0_PS1_.has_recursion, 0
	.set _ZN9rocsparseL34csrgemm_symbolic_max_row_nnz_part1ILj256EliEEvT1_PKT0_PS1_.has_indirect_call, 0
	.section	.AMDGPU.csdata,"",@progbits
; Kernel info:
; codeLenInByte = 700
; TotalNumSgprs: 12
; NumVgprs: 8
; ScratchSize: 0
; MemoryBound: 0
; FloatMode: 240
; IeeeMode: 1
; LDSByteSize: 1024 bytes/workgroup (compile time only)
; SGPRBlocks: 0
; VGPRBlocks: 0
; NumSGPRsForWavesPerEU: 12
; NumVGPRsForWavesPerEU: 8
; Occupancy: 16
; WaveLimiterHint : 0
; COMPUTE_PGM_RSRC2:SCRATCH_EN: 0
; COMPUTE_PGM_RSRC2:USER_SGPR: 6
; COMPUTE_PGM_RSRC2:TRAP_HANDLER: 0
; COMPUTE_PGM_RSRC2:TGID_X_EN: 1
; COMPUTE_PGM_RSRC2:TGID_Y_EN: 0
; COMPUTE_PGM_RSRC2:TGID_Z_EN: 0
; COMPUTE_PGM_RSRC2:TIDIG_COMP_CNT: 0
	.section	.text._ZN9rocsparseL35csrgemm_symbolic_group_reduce_part2ILj256ELj11EliEEvT2_PKT1_PS1_Pij,"axG",@progbits,_ZN9rocsparseL35csrgemm_symbolic_group_reduce_part2ILj256ELj11EliEEvT2_PKT1_PS1_Pij,comdat
	.globl	_ZN9rocsparseL35csrgemm_symbolic_group_reduce_part2ILj256ELj11EliEEvT2_PKT1_PS1_Pij ; -- Begin function _ZN9rocsparseL35csrgemm_symbolic_group_reduce_part2ILj256ELj11EliEEvT2_PKT1_PS1_Pij
	.p2align	8
	.type	_ZN9rocsparseL35csrgemm_symbolic_group_reduce_part2ILj256ELj11EliEEvT2_PKT1_PS1_Pij,@function
_ZN9rocsparseL35csrgemm_symbolic_group_reduce_part2ILj256ELj11EliEEvT2_PKT1_PS1_Pij: ; @_ZN9rocsparseL35csrgemm_symbolic_group_reduce_part2ILj256ELj11EliEEvT2_PKT1_PS1_Pij
; %bb.0:
	s_clause 0x1
	s_load_dword s1, s[4:5], 0x0
	s_load_dwordx2 s[2:3], s[4:5], 0x10
	v_mul_u32_u24_e32 v5, 44, v0
	v_mov_b32_e32 v6, 0
	v_lshl_or_b32 v1, s6, 8, v0
	s_mov_b32 s7, 0
	s_mov_b32 s10, exec_lo
	ds_write2_b32 v5, v6, v6 offset1:1
	ds_write2_b32 v5, v6, v6 offset0:2 offset1:3
	ds_write2_b32 v5, v6, v6 offset0:4 offset1:5
	;; [unrolled: 1-line block ×4, first 2 shown]
	ds_write_b32 v5, v6 offset:40
	s_waitcnt lgkmcnt(0)
	buffer_gl0_inv
	v_cmpx_gt_i32_e64 s1, v1
	s_cbranch_execz .LBB25_43
; %bb.1:
	s_clause 0x3
	s_load_dword s0, s[4:5], 0x20
	s_load_dwordx2 s[8:9], s[4:5], 0x8
	s_load_dword s11, s[4:5], 0x28
	s_load_dwordx2 s[4:5], s[4:5], 0x18
	v_mov_b32_e32 v7, 6
	v_mov_b32_e32 v8, 7
	v_mov_b32_e32 v9, 8
	v_mov_b32_e32 v10, 9
	v_mov_b32_e32 v11, 10
	v_mov_b32_e32 v12, 5
	v_mov_b32_e32 v13, 4
	v_mov_b32_e32 v14, 3
	v_mov_b32_e32 v15, 2
	v_mov_b32_e32 v16, 1
	s_waitcnt lgkmcnt(0)
	s_cmpk_lt_u32 s0, 0x4084
	s_cselect_b32 s12, -1, 0
	s_cmpk_lt_u32 s0, 0x8084
	s_cselect_b32 s13, -1, 0
	s_cmp_lt_u32 s0, 0x10084
	s_cselect_b32 s14, -1, 0
	s_cmp_lt_u32 s0, 0x20084
	s_cselect_b32 s0, -1, 0
	s_lshl_b32 s11, s11, 8
	s_xor_b32 s12, s12, -1
	s_xor_b32 s13, s13, -1
	;; [unrolled: 1-line block ×4, first 2 shown]
	s_branch .LBB25_3
.LBB25_2:                               ;   in Loop: Header=BB25_3 Depth=1
	s_or_b32 exec_lo, exec_lo, s0
	v_add_nc_u32_e32 v1, s11, v1
	v_cmp_le_i32_e32 vcc_lo, s1, v1
	s_or_b32 s7, vcc_lo, s7
	s_andn2_b32 exec_lo, exec_lo, s7
	s_cbranch_execz .LBB25_43
.LBB25_3:                               ; =>This Inner Loop Header: Depth=1
	v_ashrrev_i32_e32 v2, 31, v1
	s_mov_b32 s0, exec_lo
	v_lshlrev_b64 v[3:4], 3, v[1:2]
	v_add_co_u32 v3, vcc_lo, s8, v3
	v_add_co_ci_u32_e64 v4, null, s9, v4, vcc_lo
	global_load_dwordx4 v[17:20], v[3:4], off
	s_waitcnt vmcnt(0)
	v_sub_co_u32 v3, vcc_lo, v19, v17
	v_sub_co_ci_u32_e64 v4, null, v20, v18, vcc_lo
	v_cmpx_lt_i64_e32 16, v[3:4]
	s_xor_b32 s16, exec_lo, s0
	s_cbranch_execz .LBB25_41
; %bb.4:                                ;   in Loop: Header=BB25_3 Depth=1
	s_mov_b32 s0, exec_lo
	v_cmpx_lt_u64_e32 32, v[3:4]
	s_xor_b32 s17, exec_lo, s0
	s_cbranch_execz .LBB25_38
; %bb.5:                                ;   in Loop: Header=BB25_3 Depth=1
	s_mov_b32 s0, exec_lo
	v_cmpx_lt_u64_e32 0x100, v[3:4]
	;; [unrolled: 5-line block ×5, first 2 shown]
	s_xor_b32 s21, exec_lo, s0
	s_cbranch_execz .LBB25_26
; %bb.9:                                ;   in Loop: Header=BB25_3 Depth=1
	v_cmp_gt_u64_e32 vcc_lo, 0x1001, v[3:4]
	s_and_b32 s0, s12, vcc_lo
	s_and_saveexec_b32 s22, s0
	s_xor_b32 s0, exec_lo, s22
	s_cbranch_execz .LBB25_11
; %bb.10:                               ;   in Loop: Header=BB25_3 Depth=1
	ds_read_b32 v17, v5 offset:24
	v_lshlrev_b64 v[3:4], 2, v[1:2]
	v_add_co_u32 v3, vcc_lo, s4, v3
	v_add_co_ci_u32_e64 v4, null, s5, v4, vcc_lo
	global_store_dword v[3:4], v7, off
                                        ; implicit-def: $vgpr3_vgpr4
	s_waitcnt lgkmcnt(0)
	v_add_nc_u32_e32 v17, 1, v17
	ds_write_b32 v5, v17 offset:24
.LBB25_11:                              ;   in Loop: Header=BB25_3 Depth=1
	s_andn2_saveexec_b32 s22, s0
	s_cbranch_execz .LBB25_25
; %bb.12:                               ;   in Loop: Header=BB25_3 Depth=1
	v_cmp_gt_u64_e32 vcc_lo, 0x2001, v[3:4]
	s_and_b32 s0, s13, vcc_lo
	s_and_saveexec_b32 s23, s0
	s_xor_b32 s0, exec_lo, s23
	s_cbranch_execz .LBB25_14
; %bb.13:                               ;   in Loop: Header=BB25_3 Depth=1
	ds_read_b32 v17, v5 offset:28
	v_lshlrev_b64 v[3:4], 2, v[1:2]
	v_add_co_u32 v3, vcc_lo, s4, v3
	v_add_co_ci_u32_e64 v4, null, s5, v4, vcc_lo
	global_store_dword v[3:4], v8, off
                                        ; implicit-def: $vgpr3_vgpr4
	s_waitcnt lgkmcnt(0)
	v_add_nc_u32_e32 v17, 1, v17
	ds_write_b32 v5, v17 offset:28
.LBB25_14:                              ;   in Loop: Header=BB25_3 Depth=1
	s_andn2_saveexec_b32 s23, s0
	s_cbranch_execz .LBB25_24
; %bb.15:                               ;   in Loop: Header=BB25_3 Depth=1
	;; [unrolled: 19-line block ×3, first 2 shown]
	v_lshlrev_b64 v[17:18], 2, v[1:2]
	v_cmp_gt_u64_e32 vcc_lo, 0x8001, v[3:4]
	v_add_co_u32 v3, s0, s4, v17
	v_add_co_ci_u32_e64 v4, null, s5, v18, s0
	s_and_b32 s0, s15, vcc_lo
	s_and_saveexec_b32 s25, s0
	s_xor_b32 s0, exec_lo, s25
	s_cbranch_execz .LBB25_20
; %bb.19:                               ;   in Loop: Header=BB25_3 Depth=1
	ds_read_b32 v17, v5 offset:36
	global_store_dword v[3:4], v10, off
                                        ; implicit-def: $vgpr3_vgpr4
	s_waitcnt lgkmcnt(0)
	v_add_nc_u32_e32 v17, 1, v17
	ds_write_b32 v5, v17 offset:36
.LBB25_20:                              ;   in Loop: Header=BB25_3 Depth=1
	s_andn2_saveexec_b32 s0, s0
	s_cbranch_execz .LBB25_22
; %bb.21:                               ;   in Loop: Header=BB25_3 Depth=1
	ds_read_b32 v17, v5 offset:40
	global_store_dword v[3:4], v11, off
	s_waitcnt lgkmcnt(0)
	v_add_nc_u32_e32 v17, 1, v17
	ds_write_b32 v5, v17 offset:40
.LBB25_22:                              ;   in Loop: Header=BB25_3 Depth=1
	s_or_b32 exec_lo, exec_lo, s0
.LBB25_23:                              ;   in Loop: Header=BB25_3 Depth=1
	s_or_b32 exec_lo, exec_lo, s24
.LBB25_24:                              ;   in Loop: Header=BB25_3 Depth=1
	s_or_b32 exec_lo, exec_lo, s23
.LBB25_25:                              ;   in Loop: Header=BB25_3 Depth=1
	s_or_b32 exec_lo, exec_lo, s22
.LBB25_26:                              ;   in Loop: Header=BB25_3 Depth=1
	s_andn2_saveexec_b32 s0, s21
	s_cbranch_execz .LBB25_28
; %bb.27:                               ;   in Loop: Header=BB25_3 Depth=1
	ds_read_b32 v17, v5 offset:20
	v_lshlrev_b64 v[3:4], 2, v[1:2]
	v_add_co_u32 v3, vcc_lo, s4, v3
	v_add_co_ci_u32_e64 v4, null, s5, v4, vcc_lo
	global_store_dword v[3:4], v12, off
	s_waitcnt lgkmcnt(0)
	v_add_nc_u32_e32 v17, 1, v17
	ds_write_b32 v5, v17 offset:20
.LBB25_28:                              ;   in Loop: Header=BB25_3 Depth=1
	s_or_b32 exec_lo, exec_lo, s0
.LBB25_29:                              ;   in Loop: Header=BB25_3 Depth=1
	s_andn2_saveexec_b32 s0, s20
	s_cbranch_execz .LBB25_31
; %bb.30:                               ;   in Loop: Header=BB25_3 Depth=1
	ds_read_b32 v17, v5 offset:16
	v_lshlrev_b64 v[3:4], 2, v[1:2]
	v_add_co_u32 v3, vcc_lo, s4, v3
	v_add_co_ci_u32_e64 v4, null, s5, v4, vcc_lo
	global_store_dword v[3:4], v13, off
	s_waitcnt lgkmcnt(0)
	v_add_nc_u32_e32 v17, 1, v17
	ds_write_b32 v5, v17 offset:16
.LBB25_31:                              ;   in Loop: Header=BB25_3 Depth=1
	s_or_b32 exec_lo, exec_lo, s0
.LBB25_32:                              ;   in Loop: Header=BB25_3 Depth=1
	s_andn2_saveexec_b32 s0, s19
	s_cbranch_execz .LBB25_34
; %bb.33:                               ;   in Loop: Header=BB25_3 Depth=1
	ds_read_b32 v17, v5 offset:12
	v_lshlrev_b64 v[3:4], 2, v[1:2]
	v_add_co_u32 v3, vcc_lo, s4, v3
	v_add_co_ci_u32_e64 v4, null, s5, v4, vcc_lo
	global_store_dword v[3:4], v14, off
	s_waitcnt lgkmcnt(0)
	v_add_nc_u32_e32 v17, 1, v17
	ds_write_b32 v5, v17 offset:12
.LBB25_34:                              ;   in Loop: Header=BB25_3 Depth=1
	s_or_b32 exec_lo, exec_lo, s0
.LBB25_35:                              ;   in Loop: Header=BB25_3 Depth=1
	s_andn2_saveexec_b32 s0, s18
	s_cbranch_execz .LBB25_37
; %bb.36:                               ;   in Loop: Header=BB25_3 Depth=1
	ds_read_b32 v17, v5 offset:8
	v_lshlrev_b64 v[3:4], 2, v[1:2]
	v_add_co_u32 v3, vcc_lo, s4, v3
	v_add_co_ci_u32_e64 v4, null, s5, v4, vcc_lo
	global_store_dword v[3:4], v15, off
	s_waitcnt lgkmcnt(0)
	v_add_nc_u32_e32 v17, 1, v17
	ds_write_b32 v5, v17 offset:8
.LBB25_37:                              ;   in Loop: Header=BB25_3 Depth=1
	s_or_b32 exec_lo, exec_lo, s0
.LBB25_38:                              ;   in Loop: Header=BB25_3 Depth=1
	s_andn2_saveexec_b32 s0, s17
	s_cbranch_execz .LBB25_40
; %bb.39:                               ;   in Loop: Header=BB25_3 Depth=1
	ds_read_b32 v17, v5 offset:4
	v_lshlrev_b64 v[3:4], 2, v[1:2]
	v_add_co_u32 v3, vcc_lo, s4, v3
	v_add_co_ci_u32_e64 v4, null, s5, v4, vcc_lo
	global_store_dword v[3:4], v16, off
	s_waitcnt lgkmcnt(0)
	v_add_nc_u32_e32 v17, 1, v17
	ds_write_b32 v5, v17 offset:4
.LBB25_40:                              ;   in Loop: Header=BB25_3 Depth=1
	s_or_b32 exec_lo, exec_lo, s0
.LBB25_41:                              ;   in Loop: Header=BB25_3 Depth=1
	s_andn2_saveexec_b32 s0, s16
	s_cbranch_execz .LBB25_2
; %bb.42:                               ;   in Loop: Header=BB25_3 Depth=1
	ds_read_b32 v4, v5
	v_lshlrev_b64 v[2:3], 2, v[1:2]
	v_add_co_u32 v2, vcc_lo, s4, v2
	v_add_co_ci_u32_e64 v3, null, s5, v3, vcc_lo
	global_store_dword v[2:3], v6, off
	s_waitcnt lgkmcnt(0)
	v_add_nc_u32_e32 v4, 1, v4
	ds_write_b32 v5, v4
	s_branch .LBB25_2
.LBB25_43:
	s_or_b32 exec_lo, exec_lo, s10
	s_mov_b32 s0, exec_lo
	s_waitcnt lgkmcnt(0)
	s_waitcnt_vscnt null, 0x0
	s_barrier
	buffer_gl0_inv
	s_barrier
	buffer_gl0_inv
	;; [unrolled: 2-line block ×3, first 2 shown]
	v_cmpx_gt_u32_e32 0x80, v0
	s_cbranch_execz .LBB25_45
; %bb.44:
	v_add_nc_u32_e32 v3, 0x1600, v5
	v_add_nc_u32_e32 v6, 0x1608, v5
	;; [unrolled: 1-line block ×5, first 2 shown]
	ds_read2_b32 v[1:2], v5 offset1:1
	ds_read2_b32 v[3:4], v3 offset1:1
	;; [unrolled: 1-line block ×4, first 2 shown]
	ds_read2_b32 v[10:11], v5 offset0:2 offset1:3
	ds_read2_b32 v[12:13], v5 offset0:4 offset1:5
	;; [unrolled: 1-line block ×3, first 2 shown]
	v_add_nc_u32_e32 v22, 40, v5
	ds_read2_b32 v[16:17], v16 offset1:1
	ds_read2_b32 v[18:19], v18 offset1:1
	ds_read2_b32 v[20:21], v5 offset0:8 offset1:9
	ds_read2st64_b32 v[22:23], v22 offset1:22
	s_waitcnt lgkmcnt(9)
	v_add_nc_u32_e32 v1, v1, v3
	v_add_nc_u32_e32 v2, v2, v4
	s_waitcnt lgkmcnt(6)
	v_add_nc_u32_e32 v3, v10, v6
	v_add_nc_u32_e32 v4, v11, v7
	;; [unrolled: 3-line block ×5, first 2 shown]
	s_waitcnt lgkmcnt(0)
	v_add_nc_u32_e32 v12, v22, v23
	ds_write2_b32 v5, v1, v2 offset1:1
	ds_write2_b32 v5, v3, v4 offset0:2 offset1:3
	ds_write2_b32 v5, v6, v7 offset0:4 offset1:5
	;; [unrolled: 1-line block ×4, first 2 shown]
	ds_write_b32 v5, v12 offset:40
.LBB25_45:
	s_or_b32 exec_lo, exec_lo, s0
	s_mov_b32 s0, exec_lo
	s_waitcnt lgkmcnt(0)
	s_barrier
	buffer_gl0_inv
	v_cmpx_gt_u32_e32 64, v0
	s_cbranch_execz .LBB25_47
; %bb.46:
	v_add_nc_u32_e32 v3, 0xb00, v5
	v_add_nc_u32_e32 v6, 0xb08, v5
	;; [unrolled: 1-line block ×5, first 2 shown]
	ds_read2_b32 v[1:2], v5 offset1:1
	ds_read2_b32 v[3:4], v3 offset1:1
	;; [unrolled: 1-line block ×4, first 2 shown]
	ds_read2_b32 v[10:11], v5 offset0:2 offset1:3
	ds_read2_b32 v[12:13], v5 offset0:4 offset1:5
	;; [unrolled: 1-line block ×3, first 2 shown]
	v_add_nc_u32_e32 v22, 40, v5
	ds_read2_b32 v[16:17], v16 offset1:1
	ds_read2_b32 v[18:19], v18 offset1:1
	ds_read2_b32 v[20:21], v5 offset0:8 offset1:9
	ds_read2st64_b32 v[22:23], v22 offset1:11
	s_waitcnt lgkmcnt(9)
	v_add_nc_u32_e32 v1, v1, v3
	v_add_nc_u32_e32 v2, v2, v4
	s_waitcnt lgkmcnt(6)
	v_add_nc_u32_e32 v3, v10, v6
	v_add_nc_u32_e32 v4, v11, v7
	;; [unrolled: 3-line block ×5, first 2 shown]
	s_waitcnt lgkmcnt(0)
	v_add_nc_u32_e32 v12, v22, v23
	ds_write2_b32 v5, v1, v2 offset1:1
	ds_write2_b32 v5, v3, v4 offset0:2 offset1:3
	ds_write2_b32 v5, v6, v7 offset0:4 offset1:5
	;; [unrolled: 1-line block ×4, first 2 shown]
	ds_write_b32 v5, v12 offset:40
.LBB25_47:
	s_or_b32 exec_lo, exec_lo, s0
	s_mov_b32 s0, exec_lo
	s_waitcnt lgkmcnt(0)
	s_barrier
	buffer_gl0_inv
	v_cmpx_gt_u32_e32 32, v0
	s_cbranch_execz .LBB25_49
; %bb.48:
	v_add_nc_u32_e32 v6, 0x580, v5
	v_add_nc_u32_e32 v8, 0x588, v5
	ds_read2_b32 v[1:2], v5 offset1:1
	ds_read2_b32 v[3:4], v5 offset0:2 offset1:3
	v_add_nc_u32_e32 v10, 0x590, v5
	v_add_nc_u32_e32 v16, 0x598, v5
	ds_read2_b32 v[6:7], v6 offset1:1
	v_add_nc_u32_e32 v18, 0x5a0, v5
	ds_read2_b32 v[8:9], v8 offset1:1
	ds_read2_b32 v[10:11], v10 offset1:1
	ds_read2_b32 v[12:13], v5 offset0:4 offset1:5
	ds_read2_b32 v[14:15], v5 offset0:6 offset1:7
	ds_read2_b32 v[16:17], v16 offset1:1
	ds_read2_b32 v[18:19], v18 offset1:1
	ds_read2_b32 v[20:21], v5 offset0:8 offset1:9
	ds_read_b32 v22, v5 offset:1448
	ds_read_b32 v23, v5 offset:40
	s_waitcnt lgkmcnt(8)
	v_add_nc_u32_e32 v3, v3, v8
	v_add_nc_u32_e32 v4, v4, v9
	s_waitcnt lgkmcnt(4)
	v_add_nc_u32_e32 v8, v14, v16
	v_add_nc_u32_e32 v1, v1, v6
	v_add_nc_u32_e32 v2, v2, v7
	v_add_nc_u32_e32 v6, v12, v10
	v_add_nc_u32_e32 v7, v13, v11
	v_add_nc_u32_e32 v9, v15, v17
	s_waitcnt lgkmcnt(2)
	v_add_nc_u32_e32 v10, v20, v18
	v_add_nc_u32_e32 v11, v21, v19
	s_waitcnt lgkmcnt(0)
	v_add_nc_u32_e32 v12, v23, v22
	ds_write2_b32 v5, v1, v2 offset1:1
	ds_write2_b32 v5, v3, v4 offset0:2 offset1:3
	ds_write2_b32 v5, v6, v7 offset0:4 offset1:5
	;; [unrolled: 1-line block ×4, first 2 shown]
	ds_write_b32 v5, v12 offset:40
.LBB25_49:
	s_or_b32 exec_lo, exec_lo, s0
	s_mov_b32 s0, exec_lo
	s_waitcnt lgkmcnt(0)
	s_barrier
	buffer_gl0_inv
	v_cmpx_gt_u32_e32 16, v0
	s_cbranch_execz .LBB25_51
; %bb.50:
	ds_read2_b32 v[1:2], v5 offset0:176 offset1:177
	ds_read2_b32 v[3:4], v5 offset1:1
	ds_read2_b32 v[6:7], v5 offset0:2 offset1:3
	ds_read2_b32 v[8:9], v5 offset0:178 offset1:179
	ds_read2_b32 v[10:11], v5 offset0:180 offset1:181
	ds_read2_b32 v[12:13], v5 offset0:4 offset1:5
	ds_read2_b32 v[14:15], v5 offset0:6 offset1:7
	ds_read2_b32 v[16:17], v5 offset0:182 offset1:183
	ds_read2_b32 v[18:19], v5 offset0:184 offset1:185
	ds_read2_b32 v[20:21], v5 offset0:8 offset1:9
	ds_read2_b32 v[22:23], v5 offset0:10 offset1:186
	s_waitcnt lgkmcnt(9)
	v_add_nc_u32_e32 v1, v3, v1
	v_add_nc_u32_e32 v2, v4, v2
	s_waitcnt lgkmcnt(7)
	v_add_nc_u32_e32 v3, v6, v8
	v_add_nc_u32_e32 v4, v7, v9
	s_waitcnt lgkmcnt(5)
	v_add_nc_u32_e32 v6, v12, v10
	v_add_nc_u32_e32 v7, v13, v11
	s_waitcnt lgkmcnt(3)
	v_add_nc_u32_e32 v8, v14, v16
	v_add_nc_u32_e32 v9, v15, v17
	s_waitcnt lgkmcnt(1)
	v_add_nc_u32_e32 v10, v20, v18
	v_add_nc_u32_e32 v11, v21, v19
	s_waitcnt lgkmcnt(0)
	v_add_nc_u32_e32 v12, v22, v23
	ds_write2_b32 v5, v1, v2 offset1:1
	ds_write2_b32 v5, v3, v4 offset0:2 offset1:3
	ds_write2_b32 v5, v6, v7 offset0:4 offset1:5
	ds_write2_b32 v5, v8, v9 offset0:6 offset1:7
	ds_write2_b32 v5, v10, v11 offset0:8 offset1:9
	ds_write_b32 v5, v12 offset:40
.LBB25_51:
	s_or_b32 exec_lo, exec_lo, s0
	s_mov_b32 s0, exec_lo
	s_waitcnt lgkmcnt(0)
	s_barrier
	buffer_gl0_inv
	v_cmpx_gt_u32_e32 8, v0
	s_cbranch_execz .LBB25_53
; %bb.52:
	ds_read2_b32 v[1:2], v5 offset0:88 offset1:89
	ds_read2_b32 v[3:4], v5 offset1:1
	ds_read2_b32 v[6:7], v5 offset0:2 offset1:3
	ds_read2_b32 v[8:9], v5 offset0:90 offset1:91
	ds_read2_b32 v[10:11], v5 offset0:92 offset1:93
	ds_read2_b32 v[12:13], v5 offset0:4 offset1:5
	ds_read2_b32 v[14:15], v5 offset0:6 offset1:7
	ds_read2_b32 v[16:17], v5 offset0:94 offset1:95
	ds_read2_b32 v[18:19], v5 offset0:96 offset1:97
	ds_read2_b32 v[20:21], v5 offset0:8 offset1:9
	ds_read2_b32 v[22:23], v5 offset0:10 offset1:98
	s_waitcnt lgkmcnt(9)
	v_add_nc_u32_e32 v1, v3, v1
	v_add_nc_u32_e32 v2, v4, v2
	s_waitcnt lgkmcnt(7)
	v_add_nc_u32_e32 v3, v6, v8
	v_add_nc_u32_e32 v4, v7, v9
	s_waitcnt lgkmcnt(5)
	v_add_nc_u32_e32 v6, v12, v10
	v_add_nc_u32_e32 v7, v13, v11
	s_waitcnt lgkmcnt(3)
	v_add_nc_u32_e32 v8, v14, v16
	v_add_nc_u32_e32 v9, v15, v17
	s_waitcnt lgkmcnt(1)
	v_add_nc_u32_e32 v10, v20, v18
	v_add_nc_u32_e32 v11, v21, v19
	s_waitcnt lgkmcnt(0)
	v_add_nc_u32_e32 v12, v22, v23
	ds_write2_b32 v5, v1, v2 offset1:1
	ds_write2_b32 v5, v3, v4 offset0:2 offset1:3
	ds_write2_b32 v5, v6, v7 offset0:4 offset1:5
	ds_write2_b32 v5, v8, v9 offset0:6 offset1:7
	ds_write2_b32 v5, v10, v11 offset0:8 offset1:9
	ds_write_b32 v5, v12 offset:40
.LBB25_53:
	;; [unrolled: 43-line block ×4, first 2 shown]
	s_or_b32 exec_lo, exec_lo, s0
	s_mov_b32 s0, exec_lo
	s_waitcnt lgkmcnt(0)
	s_barrier
	buffer_gl0_inv
	v_cmpx_eq_u32_e32 0, v0
	s_cbranch_execz .LBB25_59
; %bb.58:
	v_mov_b32_e32 v23, 0
	ds_read_b128 v[1:4], v23
	ds_read_b128 v[5:8], v23 offset:32
	ds_read_b128 v[9:12], v23 offset:48
	;; [unrolled: 1-line block ×4, first 2 shown]
	ds_read_b64 v[21:22], v23 offset:80
	s_waitcnt lgkmcnt(4)
	v_add_nc_u32_e32 v1, v1, v8
	s_waitcnt lgkmcnt(3)
	v_add_nc_u32_e32 v2, v2, v9
	v_add_nc_u32_e32 v3, v3, v10
	;; [unrolled: 1-line block ×3, first 2 shown]
	s_waitcnt lgkmcnt(2)
	v_add_nc_u32_e32 v8, v13, v12
	s_waitcnt lgkmcnt(1)
	v_add_nc_u32_e32 v9, v14, v17
	v_add_nc_u32_e32 v10, v15, v18
	;; [unrolled: 1-line block ×4, first 2 shown]
	s_waitcnt lgkmcnt(0)
	v_add_nc_u32_e32 v6, v6, v21
	v_add_nc_u32_e32 v7, v7, v22
	ds_write_b128 v23, v[1:4]
	ds_write_b128 v23, v[8:11] offset:16
	ds_write_b96 v23, v[5:7] offset:32
.LBB25_59:
	s_or_b32 exec_lo, exec_lo, s0
	s_waitcnt lgkmcnt(0)
	s_barrier
	buffer_gl0_inv
	s_mov_b32 s0, exec_lo
	v_cmpx_gt_u32_e32 11, v0
	s_cbranch_execz .LBB25_61
; %bb.60:
	v_lshlrev_b32_e32 v2, 2, v0
	v_mad_u64_u32 v[0:1], null, s6, 11, v[0:1]
	v_mov_b32_e32 v1, 0
	ds_read_b32 v2, v2
	v_lshlrev_b64 v[0:1], 2, v[0:1]
	v_add_co_u32 v0, vcc_lo, s2, v0
	v_add_co_ci_u32_e64 v1, null, s3, v1, vcc_lo
	s_waitcnt lgkmcnt(0)
	global_store_dword v[0:1], v2, off
.LBB25_61:
	s_endpgm
	.section	.rodata,"a",@progbits
	.p2align	6, 0x0
	.amdhsa_kernel _ZN9rocsparseL35csrgemm_symbolic_group_reduce_part2ILj256ELj11EliEEvT2_PKT1_PS1_Pij
		.amdhsa_group_segment_fixed_size 11264
		.amdhsa_private_segment_fixed_size 0
		.amdhsa_kernarg_size 296
		.amdhsa_user_sgpr_count 6
		.amdhsa_user_sgpr_private_segment_buffer 1
		.amdhsa_user_sgpr_dispatch_ptr 0
		.amdhsa_user_sgpr_queue_ptr 0
		.amdhsa_user_sgpr_kernarg_segment_ptr 1
		.amdhsa_user_sgpr_dispatch_id 0
		.amdhsa_user_sgpr_flat_scratch_init 0
		.amdhsa_user_sgpr_private_segment_size 0
		.amdhsa_wavefront_size32 1
		.amdhsa_uses_dynamic_stack 0
		.amdhsa_system_sgpr_private_segment_wavefront_offset 0
		.amdhsa_system_sgpr_workgroup_id_x 1
		.amdhsa_system_sgpr_workgroup_id_y 0
		.amdhsa_system_sgpr_workgroup_id_z 0
		.amdhsa_system_sgpr_workgroup_info 0
		.amdhsa_system_vgpr_workitem_id 0
		.amdhsa_next_free_vgpr 24
		.amdhsa_next_free_sgpr 26
		.amdhsa_reserve_vcc 1
		.amdhsa_reserve_flat_scratch 0
		.amdhsa_float_round_mode_32 0
		.amdhsa_float_round_mode_16_64 0
		.amdhsa_float_denorm_mode_32 3
		.amdhsa_float_denorm_mode_16_64 3
		.amdhsa_dx10_clamp 1
		.amdhsa_ieee_mode 1
		.amdhsa_fp16_overflow 0
		.amdhsa_workgroup_processor_mode 1
		.amdhsa_memory_ordered 1
		.amdhsa_forward_progress 1
		.amdhsa_shared_vgpr_count 0
		.amdhsa_exception_fp_ieee_invalid_op 0
		.amdhsa_exception_fp_denorm_src 0
		.amdhsa_exception_fp_ieee_div_zero 0
		.amdhsa_exception_fp_ieee_overflow 0
		.amdhsa_exception_fp_ieee_underflow 0
		.amdhsa_exception_fp_ieee_inexact 0
		.amdhsa_exception_int_div_zero 0
	.end_amdhsa_kernel
	.section	.text._ZN9rocsparseL35csrgemm_symbolic_group_reduce_part2ILj256ELj11EliEEvT2_PKT1_PS1_Pij,"axG",@progbits,_ZN9rocsparseL35csrgemm_symbolic_group_reduce_part2ILj256ELj11EliEEvT2_PKT1_PS1_Pij,comdat
.Lfunc_end25:
	.size	_ZN9rocsparseL35csrgemm_symbolic_group_reduce_part2ILj256ELj11EliEEvT2_PKT1_PS1_Pij, .Lfunc_end25-_ZN9rocsparseL35csrgemm_symbolic_group_reduce_part2ILj256ELj11EliEEvT2_PKT1_PS1_Pij
                                        ; -- End function
	.set _ZN9rocsparseL35csrgemm_symbolic_group_reduce_part2ILj256ELj11EliEEvT2_PKT1_PS1_Pij.num_vgpr, 24
	.set _ZN9rocsparseL35csrgemm_symbolic_group_reduce_part2ILj256ELj11EliEEvT2_PKT1_PS1_Pij.num_agpr, 0
	.set _ZN9rocsparseL35csrgemm_symbolic_group_reduce_part2ILj256ELj11EliEEvT2_PKT1_PS1_Pij.numbered_sgpr, 26
	.set _ZN9rocsparseL35csrgemm_symbolic_group_reduce_part2ILj256ELj11EliEEvT2_PKT1_PS1_Pij.num_named_barrier, 0
	.set _ZN9rocsparseL35csrgemm_symbolic_group_reduce_part2ILj256ELj11EliEEvT2_PKT1_PS1_Pij.private_seg_size, 0
	.set _ZN9rocsparseL35csrgemm_symbolic_group_reduce_part2ILj256ELj11EliEEvT2_PKT1_PS1_Pij.uses_vcc, 1
	.set _ZN9rocsparseL35csrgemm_symbolic_group_reduce_part2ILj256ELj11EliEEvT2_PKT1_PS1_Pij.uses_flat_scratch, 0
	.set _ZN9rocsparseL35csrgemm_symbolic_group_reduce_part2ILj256ELj11EliEEvT2_PKT1_PS1_Pij.has_dyn_sized_stack, 0
	.set _ZN9rocsparseL35csrgemm_symbolic_group_reduce_part2ILj256ELj11EliEEvT2_PKT1_PS1_Pij.has_recursion, 0
	.set _ZN9rocsparseL35csrgemm_symbolic_group_reduce_part2ILj256ELj11EliEEvT2_PKT1_PS1_Pij.has_indirect_call, 0
	.section	.AMDGPU.csdata,"",@progbits
; Kernel info:
; codeLenInByte = 3340
; TotalNumSgprs: 28
; NumVgprs: 24
; ScratchSize: 0
; MemoryBound: 0
; FloatMode: 240
; IeeeMode: 1
; LDSByteSize: 11264 bytes/workgroup (compile time only)
; SGPRBlocks: 0
; VGPRBlocks: 2
; NumSGPRsForWavesPerEU: 28
; NumVGPRsForWavesPerEU: 24
; Occupancy: 16
; WaveLimiterHint : 0
; COMPUTE_PGM_RSRC2:SCRATCH_EN: 0
; COMPUTE_PGM_RSRC2:USER_SGPR: 6
; COMPUTE_PGM_RSRC2:TRAP_HANDLER: 0
; COMPUTE_PGM_RSRC2:TGID_X_EN: 1
; COMPUTE_PGM_RSRC2:TGID_Y_EN: 0
; COMPUTE_PGM_RSRC2:TGID_Z_EN: 0
; COMPUTE_PGM_RSRC2:TIDIG_COMP_CNT: 0
	.section	.text._ZN9rocsparseL32csrgemm_symbolic_fill_wf_per_rowILj256ELj8ELj16ELj137EliEEvT4_S1_PKS1_S3_PKT3_S3_S6_S3_S6_S3_S6_PS1_21rocsparse_index_base_S8_S8_S8_bb,"axG",@progbits,_ZN9rocsparseL32csrgemm_symbolic_fill_wf_per_rowILj256ELj8ELj16ELj137EliEEvT4_S1_PKS1_S3_PKT3_S3_S6_S3_S6_S3_S6_PS1_21rocsparse_index_base_S8_S8_S8_bb,comdat
	.globl	_ZN9rocsparseL32csrgemm_symbolic_fill_wf_per_rowILj256ELj8ELj16ELj137EliEEvT4_S1_PKS1_S3_PKT3_S3_S6_S3_S6_S3_S6_PS1_21rocsparse_index_base_S8_S8_S8_bb ; -- Begin function _ZN9rocsparseL32csrgemm_symbolic_fill_wf_per_rowILj256ELj8ELj16ELj137EliEEvT4_S1_PKS1_S3_PKT3_S3_S6_S3_S6_S3_S6_PS1_21rocsparse_index_base_S8_S8_S8_bb
	.p2align	8
	.type	_ZN9rocsparseL32csrgemm_symbolic_fill_wf_per_rowILj256ELj8ELj16ELj137EliEEvT4_S1_PKS1_S3_PKT3_S3_S6_S3_S6_S3_S6_PS1_21rocsparse_index_base_S8_S8_S8_bb,@function
_ZN9rocsparseL32csrgemm_symbolic_fill_wf_per_rowILj256ELj8ELj16ELj137EliEEvT4_S1_PKS1_S3_PKT3_S3_S6_S3_S6_S3_S6_PS1_21rocsparse_index_base_S8_S8_S8_bb: ; @_ZN9rocsparseL32csrgemm_symbolic_fill_wf_per_rowILj256ELj8ELj16ELj137EliEEvT4_S1_PKS1_S3_PKT3_S3_S6_S3_S6_S3_S6_PS1_21rocsparse_index_base_S8_S8_S8_bb
; %bb.0:
	s_clause 0x3
	s_load_dwordx8 s[8:15], s[4:5], 0x0
	s_load_dwordx2 s[28:29], s[4:5], 0x50
	s_load_dwordx4 s[24:27], s[4:5], 0x40
	s_load_dwordx8 s[16:23], s[4:5], 0x20
	v_lshrrev_b32_e32 v1, 3, v0
	v_and_b32_e32 v13, 7, v0
	s_mov_b32 s0, 0
	v_lshlrev_b32_e32 v10, 6, v1
	v_or_b32_e32 v12, -8, v13
	v_lshl_or_b32 v11, v13, 2, v10
	v_mov_b32_e32 v3, v12
	v_mov_b32_e32 v0, v11
	s_waitcnt lgkmcnt(0)
	v_mov_b32_e32 v2, s9
.LBB26_1:                               ; =>This Inner Loop Header: Depth=1
	v_add_co_u32 v3, s1, v3, 8
	s_xor_b32 s1, s1, -1
	ds_write_b32 v0, v2
	v_add_nc_u32_e32 v0, 32, v0
	s_and_b32 s1, exec_lo, s1
	s_or_b32 s0, s1, s0
	s_andn2_b32 exec_lo, exec_lo, s0
	s_cbranch_execnz .LBB26_1
; %bb.2:
	s_or_b32 exec_lo, exec_lo, s0
	s_lshl_b32 s0, s6, 5
	s_waitcnt lgkmcnt(0)
	buffer_gl0_inv
	v_and_or_b32 v0, 0x1fffffe0, s0, v1
	s_mov_b32 s0, exec_lo
	v_cmpx_gt_i32_e64 s8, v0
	s_cbranch_execz .LBB26_37
; %bb.3:
	s_cmp_eq_u64 s[12:13], 0
	s_cbranch_scc1 .LBB26_5
; %bb.4:
	s_load_dword s0, s[10:11], 0x0
	s_waitcnt lgkmcnt(0)
	v_add_nc_u32_e32 v0, s0, v0
	v_ashrrev_i32_e32 v1, 31, v0
	v_lshlrev_b64 v[0:1], 2, v[0:1]
	v_add_co_u32 v0, vcc_lo, s12, v0
	v_add_co_ci_u32_e64 v1, null, s13, v1, vcc_lo
	global_load_dword v0, v[0:1], off
.LBB26_5:
	s_clause 0x1
	s_load_dword s6, s[4:5], 0x68
	s_load_dwordx4 s[0:3], s[4:5], 0x58
	s_waitcnt vmcnt(0)
	v_ashrrev_i32_e32 v1, 31, v0
	v_lshlrev_b64 v[4:5], 3, v[0:1]
	s_waitcnt lgkmcnt(0)
	s_bitcmp0_b32 s6, 0
	s_cbranch_scc1 .LBB26_21
; %bb.6:
	v_add_co_u32 v0, vcc_lo, s14, v4
	v_add_co_ci_u32_e64 v1, null, s15, v5, vcc_lo
	v_sub_co_u32 v8, s4, v13, s0
	v_sub_co_ci_u32_e64 v9, null, 0, 0, s4
	global_load_dwordx4 v[0:3], v[0:1], off
	s_mov_b32 s4, exec_lo
	s_waitcnt vmcnt(0)
	v_sub_co_u32 v6, vcc_lo, v2, s0
	v_subrev_co_ci_u32_e64 v7, null, 0, v3, vcc_lo
	v_add_co_u32 v8, vcc_lo, v0, v8
	v_add_co_ci_u32_e64 v9, null, v1, v9, vcc_lo
	v_cmpx_lt_i64_e64 v[8:9], v[6:7]
	s_cbranch_execz .LBB26_20
; %bb.7:
	s_mov_b32 s5, 0
	s_mov_b32 s7, s1
	s_branch .LBB26_9
.LBB26_8:                               ;   in Loop: Header=BB26_9 Depth=1
	s_or_b32 exec_lo, exec_lo, s8
	v_add_co_u32 v8, vcc_lo, v8, 8
	v_add_co_ci_u32_e64 v9, null, 0, v9, vcc_lo
	v_cmp_ge_i64_e32 vcc_lo, v[8:9], v[6:7]
	s_or_b32 s5, vcc_lo, s5
	s_andn2_b32 exec_lo, exec_lo, s5
	s_cbranch_execz .LBB26_20
.LBB26_9:                               ; =>This Loop Header: Depth=1
                                        ;     Child Loop BB26_12 Depth 2
                                        ;       Child Loop BB26_15 Depth 3
	v_lshlrev_b64 v[0:1], 2, v[8:9]
	s_mov_b32 s8, exec_lo
	v_add_co_u32 v0, vcc_lo, s16, v0
	v_add_co_ci_u32_e64 v1, null, s17, v1, vcc_lo
	global_load_dword v0, v[0:1], off
	s_waitcnt vmcnt(0)
	v_subrev_nc_u32_e32 v0, s0, v0
	v_ashrrev_i32_e32 v1, 31, v0
	v_lshlrev_b64 v[0:1], 3, v[0:1]
	v_add_co_u32 v0, vcc_lo, s18, v0
	v_add_co_ci_u32_e64 v1, null, s19, v1, vcc_lo
	global_load_dwordx4 v[0:3], v[0:1], off
	s_waitcnt vmcnt(0)
	v_cmpx_lt_i64_e64 v[0:1], v[2:3]
	s_cbranch_execz .LBB26_8
; %bb.10:                               ;   in Loop: Header=BB26_9 Depth=1
	v_sub_co_u32 v2, vcc_lo, v2, s7
	v_subrev_co_ci_u32_e64 v3, null, 0, v3, vcc_lo
	v_sub_co_u32 v0, vcc_lo, v0, s7
	v_subrev_co_ci_u32_e64 v1, null, 0, v1, vcc_lo
	s_mov_b32 s10, 0
	s_branch .LBB26_12
.LBB26_11:                              ;   in Loop: Header=BB26_12 Depth=2
	s_inst_prefetch 0x2
	s_or_b32 exec_lo, exec_lo, s11
	v_add_co_u32 v0, vcc_lo, v0, 1
	v_add_co_ci_u32_e64 v1, null, 0, v1, vcc_lo
	v_cmp_ge_i64_e32 vcc_lo, v[0:1], v[2:3]
	s_or_b32 s10, vcc_lo, s10
	s_andn2_b32 exec_lo, exec_lo, s10
	s_cbranch_execz .LBB26_8
.LBB26_12:                              ;   Parent Loop BB26_9 Depth=1
                                        ; =>  This Loop Header: Depth=2
                                        ;       Child Loop BB26_15 Depth 3
	v_lshlrev_b64 v[14:15], 2, v[0:1]
	s_mov_b32 s11, 0
                                        ; implicit-def: $sgpr12
	v_add_co_u32 v14, vcc_lo, s20, v14
	v_add_co_ci_u32_e64 v15, null, s21, v15, vcc_lo
	global_load_dword v14, v[14:15], off
	s_waitcnt vmcnt(0)
	v_subrev_nc_u32_e32 v14, s1, v14
	v_lshl_add_u32 v15, v14, 3, v14
	v_and_b32_e32 v15, 15, v15
	s_inst_prefetch 0x1
	s_branch .LBB26_15
	.p2align	6
.LBB26_13:                              ;   in Loop: Header=BB26_15 Depth=3
	s_or_b32 exec_lo, exec_lo, s14
	s_andn2_b32 s12, s12, exec_lo
	s_and_b32 s14, s15, exec_lo
	s_or_b32 s12, s12, s14
.LBB26_14:                              ;   in Loop: Header=BB26_15 Depth=3
	s_or_b32 exec_lo, exec_lo, s13
	s_xor_b32 s13, s12, -1
	s_and_b32 s13, exec_lo, s13
	s_or_b32 s11, s13, s11
	s_andn2_b32 exec_lo, exec_lo, s11
	s_cbranch_execz .LBB26_11
.LBB26_15:                              ;   Parent Loop BB26_9 Depth=1
                                        ;     Parent Loop BB26_12 Depth=2
                                        ; =>    This Inner Loop Header: Depth=3
	v_lshl_add_u32 v16, v15, 2, v10
	s_andn2_b32 s12, s12, exec_lo
	s_mov_b32 s13, exec_lo
	ds_read_b32 v17, v16
	s_waitcnt lgkmcnt(0)
	v_cmpx_ne_u32_e64 v17, v14
	s_cbranch_execz .LBB26_14
; %bb.16:                               ;   in Loop: Header=BB26_15 Depth=3
	s_mov_b32 s14, exec_lo
	v_cmpx_ne_u32_e64 s9, v17
	s_xor_b32 s14, exec_lo, s14
; %bb.17:                               ;   in Loop: Header=BB26_15 Depth=3
	v_add_nc_u32_e32 v15, 1, v15
                                        ; implicit-def: $vgpr16
	v_and_b32_e32 v15, 15, v15
; %bb.18:                               ;   in Loop: Header=BB26_15 Depth=3
	s_or_saveexec_b32 s14, s14
	s_mov_b32 s15, -1
	s_xor_b32 exec_lo, exec_lo, s14
	s_cbranch_execz .LBB26_13
; %bb.19:                               ;   in Loop: Header=BB26_15 Depth=3
	v_mov_b32_e32 v17, s9
	ds_cmpst_rtn_b32 v16, v16, v17, v14
	s_waitcnt lgkmcnt(0)
	v_cmp_ne_u32_e32 vcc_lo, s9, v16
	s_orn2_b32 s15, vcc_lo, exec_lo
	s_branch .LBB26_13
.LBB26_20:
	s_or_b32 exec_lo, exec_lo, s4
.LBB26_21:
	s_bfe_u32 s0, s6, 0x10008
	s_cmp_eq_u32 s0, 0
	s_cbranch_scc1 .LBB26_24
; %bb.22:
	v_add_co_u32 v0, vcc_lo, s22, v4
	v_add_co_ci_u32_e64 v1, null, s23, v5, vcc_lo
	v_sub_co_u32 v2, s0, v13, s3
	v_sub_co_ci_u32_e64 v3, null, 0, 0, s0
	global_load_dwordx4 v[6:9], v[0:1], off
	s_mov_b32 s1, 0
	s_mov_b32 s0, exec_lo
	s_waitcnt vmcnt(0)
	v_sub_co_u32 v0, vcc_lo, v8, s3
	v_subrev_co_ci_u32_e64 v1, null, 0, v9, vcc_lo
	v_add_co_u32 v2, vcc_lo, v6, v2
	v_add_co_ci_u32_e64 v3, null, v7, v3, vcc_lo
	v_cmpx_lt_i64_e64 v[2:3], v[0:1]
	s_cbranch_execnz .LBB26_29
.LBB26_23:
	s_or_b32 exec_lo, exec_lo, s0
.LBB26_24:
	v_add_co_u32 v0, vcc_lo, s26, v4
	v_add_co_ci_u32_e64 v1, null, s27, v5, vcc_lo
	buffer_gl0_inv
	s_mov_b32 s0, 0
	global_load_dwordx2 v[0:1], v[0:1], off
	s_waitcnt vmcnt(0)
	v_sub_co_u32 v0, vcc_lo, v0, s2
	v_subrev_co_ci_u32_e64 v1, null, 0, v1, vcc_lo
	v_lshlrev_b64 v[0:1], 2, v[0:1]
	v_add_co_u32 v0, vcc_lo, s28, v0
	v_add_co_ci_u32_e64 v1, null, s29, v1, vcc_lo
	s_branch .LBB26_26
.LBB26_25:                              ;   in Loop: Header=BB26_26 Depth=1
	s_or_b32 exec_lo, exec_lo, s1
	v_add_co_u32 v12, s1, v12, 8
	s_xor_b32 s1, s1, -1
	v_add_nc_u32_e32 v11, 32, v11
	s_and_b32 s1, exec_lo, s1
	s_or_b32 s0, s1, s0
	s_andn2_b32 exec_lo, exec_lo, s0
	s_cbranch_execz .LBB26_37
.LBB26_26:                              ; =>This Inner Loop Header: Depth=1
	ds_read_b32 v2, v11
	s_mov_b32 s1, exec_lo
	s_waitcnt lgkmcnt(0)
	v_cmpx_gt_i32_e64 s9, v2
	s_cbranch_execz .LBB26_25
; %bb.27:                               ;   in Loop: Header=BB26_26 Depth=1
	ds_read_b128 v[3:6], v10
	ds_read_b128 v[13:16], v10 offset:16
	ds_read_b128 v[17:20], v10 offset:32
	;; [unrolled: 1-line block ×3, first 2 shown]
	s_waitcnt lgkmcnt(3)
	v_cmp_gt_i32_e32 vcc_lo, v2, v3
	v_cndmask_b32_e64 v3, 0, 1, vcc_lo
	v_cmp_gt_i32_e32 vcc_lo, v2, v4
	v_lshlrev_b32_e32 v3, 2, v3
	v_cndmask_b32_e64 v4, 0, 1, vcc_lo
	v_cmp_gt_i32_e32 vcc_lo, v2, v5
	v_lshlrev_b32_e32 v4, 2, v4
	v_cndmask_b32_e64 v5, 0, 1, vcc_lo
	v_cmp_gt_i32_e32 vcc_lo, v2, v6
	v_lshlrev_b32_e32 v5, 2, v5
	v_cndmask_b32_e64 v6, 0, 1, vcc_lo
	s_waitcnt lgkmcnt(2)
	v_cmp_gt_i32_e32 vcc_lo, v2, v13
	v_lshlrev_b32_e32 v6, 2, v6
	v_cndmask_b32_e64 v7, 0, 1, vcc_lo
	v_cmp_gt_i32_e32 vcc_lo, v2, v14
	v_cndmask_b32_e64 v8, 0, 1, vcc_lo
	v_cmp_gt_i32_e32 vcc_lo, v2, v15
	;; [unrolled: 2-line block ×3, first 2 shown]
	v_cndmask_b32_e64 v13, 0, 1, vcc_lo
	s_waitcnt lgkmcnt(1)
	v_cmp_gt_i32_e32 vcc_lo, v2, v17
	v_cndmask_b32_e64 v14, 0, 1, vcc_lo
	v_cmp_gt_i32_e32 vcc_lo, v2, v18
	v_cndmask_b32_e64 v15, 0, 1, vcc_lo
	v_add_co_u32 v3, vcc_lo, v0, v3
	v_add_co_ci_u32_e64 v16, null, 0, v1, vcc_lo
	v_add_co_u32 v3, vcc_lo, v3, v4
	v_add_co_ci_u32_e64 v4, null, 0, v16, vcc_lo
	;; [unrolled: 2-line block ×3, first 2 shown]
	v_lshlrev_b32_e32 v5, 2, v7
	v_add_co_u32 v3, vcc_lo, v3, v6
	v_add_co_ci_u32_e64 v4, null, 0, v4, vcc_lo
	v_lshlrev_b32_e32 v6, 2, v8
	v_add_co_u32 v3, vcc_lo, v3, v5
	v_add_co_ci_u32_e64 v4, null, 0, v4, vcc_lo
	;; [unrolled: 3-line block ×5, first 2 shown]
	v_cmp_gt_i32_e32 vcc_lo, v2, v19
	v_cndmask_b32_e64 v6, 0, 1, vcc_lo
	v_add_co_u32 v3, vcc_lo, v3, v5
	v_add_co_ci_u32_e64 v4, null, 0, v4, vcc_lo
	v_lshlrev_b32_e32 v5, 2, v15
	v_cmp_gt_i32_e32 vcc_lo, v2, v20
	v_lshlrev_b32_e32 v6, 2, v6
	v_cndmask_b32_e64 v7, 0, 1, vcc_lo
	v_add_co_u32 v3, vcc_lo, v3, v5
	v_add_co_ci_u32_e64 v4, null, 0, v4, vcc_lo
	v_lshlrev_b32_e32 v5, 2, v7
	v_add_co_u32 v3, vcc_lo, v3, v6
	v_add_co_ci_u32_e64 v4, null, 0, v4, vcc_lo
	s_waitcnt lgkmcnt(0)
	v_cmp_gt_i32_e32 vcc_lo, v2, v21
	v_cndmask_b32_e64 v6, 0, 1, vcc_lo
	v_add_co_u32 v3, vcc_lo, v3, v5
	v_add_co_ci_u32_e64 v4, null, 0, v4, vcc_lo
	v_cmp_gt_i32_e32 vcc_lo, v2, v22
	v_lshlrev_b32_e32 v5, 2, v6
	v_cndmask_b32_e64 v6, 0, 1, vcc_lo
	v_cmp_gt_i32_e32 vcc_lo, v2, v23
	v_cndmask_b32_e64 v7, 0, 1, vcc_lo
	v_add_co_u32 v3, vcc_lo, v3, v5
	v_add_co_ci_u32_e64 v4, null, 0, v4, vcc_lo
	v_lshlrev_b32_e32 v5, 2, v6
	v_cmp_gt_i32_e32 vcc_lo, v2, v24
	v_lshlrev_b32_e32 v6, 2, v7
	v_cndmask_b32_e64 v7, 0, 1, vcc_lo
	v_add_co_u32 v3, vcc_lo, v3, v5
	v_add_co_ci_u32_e64 v4, null, 0, v4, vcc_lo
	v_lshlrev_b32_e32 v5, 2, v7
	v_add_co_u32 v3, vcc_lo, v3, v6
	v_add_co_ci_u32_e64 v4, null, 0, v4, vcc_lo
	v_add_nc_u32_e32 v6, s2, v2
	v_add_co_u32 v2, vcc_lo, v3, v5
	v_add_co_ci_u32_e64 v3, null, 0, v4, vcc_lo
	global_store_dword v[2:3], v6, off
	s_branch .LBB26_25
.LBB26_28:                              ;   in Loop: Header=BB26_29 Depth=1
	s_inst_prefetch 0x2
	s_or_b32 exec_lo, exec_lo, s4
	v_add_co_u32 v2, vcc_lo, v2, 8
	v_add_co_ci_u32_e64 v3, null, 0, v3, vcc_lo
	v_cmp_ge_i64_e32 vcc_lo, v[2:3], v[0:1]
	s_or_b32 s1, vcc_lo, s1
	s_andn2_b32 exec_lo, exec_lo, s1
	s_cbranch_execz .LBB26_23
.LBB26_29:                              ; =>This Loop Header: Depth=1
                                        ;     Child Loop BB26_32 Depth 2
	v_lshlrev_b64 v[6:7], 2, v[2:3]
	s_mov_b32 s4, 0
                                        ; implicit-def: $sgpr5
	v_add_co_u32 v6, vcc_lo, s24, v6
	v_add_co_ci_u32_e64 v7, null, s25, v7, vcc_lo
	global_load_dword v6, v[6:7], off
	s_waitcnt vmcnt(0)
	v_subrev_nc_u32_e32 v6, s3, v6
	v_lshl_add_u32 v7, v6, 3, v6
	v_and_b32_e32 v7, 15, v7
	s_inst_prefetch 0x1
	s_branch .LBB26_32
	.p2align	6
.LBB26_30:                              ;   in Loop: Header=BB26_32 Depth=2
	s_or_b32 exec_lo, exec_lo, s7
	s_andn2_b32 s5, s5, exec_lo
	s_and_b32 s7, s8, exec_lo
	s_or_b32 s5, s5, s7
.LBB26_31:                              ;   in Loop: Header=BB26_32 Depth=2
	s_or_b32 exec_lo, exec_lo, s6
	s_xor_b32 s6, s5, -1
	s_and_b32 s6, exec_lo, s6
	s_or_b32 s4, s6, s4
	s_andn2_b32 exec_lo, exec_lo, s4
	s_cbranch_execz .LBB26_28
.LBB26_32:                              ;   Parent Loop BB26_29 Depth=1
                                        ; =>  This Inner Loop Header: Depth=2
	v_lshl_add_u32 v8, v7, 2, v10
	s_andn2_b32 s5, s5, exec_lo
	s_mov_b32 s6, exec_lo
	ds_read_b32 v9, v8
	s_waitcnt lgkmcnt(0)
	v_cmpx_ne_u32_e64 v9, v6
	s_cbranch_execz .LBB26_31
; %bb.33:                               ;   in Loop: Header=BB26_32 Depth=2
	s_mov_b32 s7, exec_lo
	v_cmpx_ne_u32_e64 s9, v9
	s_xor_b32 s7, exec_lo, s7
; %bb.34:                               ;   in Loop: Header=BB26_32 Depth=2
	v_add_nc_u32_e32 v7, 1, v7
                                        ; implicit-def: $vgpr8
	v_and_b32_e32 v7, 15, v7
; %bb.35:                               ;   in Loop: Header=BB26_32 Depth=2
	s_or_saveexec_b32 s7, s7
	s_mov_b32 s8, -1
	s_xor_b32 exec_lo, exec_lo, s7
	s_cbranch_execz .LBB26_30
; %bb.36:                               ;   in Loop: Header=BB26_32 Depth=2
	v_mov_b32_e32 v9, s9
	ds_cmpst_rtn_b32 v8, v8, v9, v6
	s_waitcnt lgkmcnt(0)
	v_cmp_ne_u32_e32 vcc_lo, s9, v8
	s_orn2_b32 s8, vcc_lo, exec_lo
	s_branch .LBB26_30
.LBB26_37:
	s_endpgm
	.section	.rodata,"a",@progbits
	.p2align	6, 0x0
	.amdhsa_kernel _ZN9rocsparseL32csrgemm_symbolic_fill_wf_per_rowILj256ELj8ELj16ELj137EliEEvT4_S1_PKS1_S3_PKT3_S3_S6_S3_S6_S3_S6_PS1_21rocsparse_index_base_S8_S8_S8_bb
		.amdhsa_group_segment_fixed_size 2048
		.amdhsa_private_segment_fixed_size 0
		.amdhsa_kernarg_size 108
		.amdhsa_user_sgpr_count 6
		.amdhsa_user_sgpr_private_segment_buffer 1
		.amdhsa_user_sgpr_dispatch_ptr 0
		.amdhsa_user_sgpr_queue_ptr 0
		.amdhsa_user_sgpr_kernarg_segment_ptr 1
		.amdhsa_user_sgpr_dispatch_id 0
		.amdhsa_user_sgpr_flat_scratch_init 0
		.amdhsa_user_sgpr_private_segment_size 0
		.amdhsa_wavefront_size32 1
		.amdhsa_uses_dynamic_stack 0
		.amdhsa_system_sgpr_private_segment_wavefront_offset 0
		.amdhsa_system_sgpr_workgroup_id_x 1
		.amdhsa_system_sgpr_workgroup_id_y 0
		.amdhsa_system_sgpr_workgroup_id_z 0
		.amdhsa_system_sgpr_workgroup_info 0
		.amdhsa_system_vgpr_workitem_id 0
		.amdhsa_next_free_vgpr 25
		.amdhsa_next_free_sgpr 30
		.amdhsa_reserve_vcc 1
		.amdhsa_reserve_flat_scratch 0
		.amdhsa_float_round_mode_32 0
		.amdhsa_float_round_mode_16_64 0
		.amdhsa_float_denorm_mode_32 3
		.amdhsa_float_denorm_mode_16_64 3
		.amdhsa_dx10_clamp 1
		.amdhsa_ieee_mode 1
		.amdhsa_fp16_overflow 0
		.amdhsa_workgroup_processor_mode 1
		.amdhsa_memory_ordered 1
		.amdhsa_forward_progress 1
		.amdhsa_shared_vgpr_count 0
		.amdhsa_exception_fp_ieee_invalid_op 0
		.amdhsa_exception_fp_denorm_src 0
		.amdhsa_exception_fp_ieee_div_zero 0
		.amdhsa_exception_fp_ieee_overflow 0
		.amdhsa_exception_fp_ieee_underflow 0
		.amdhsa_exception_fp_ieee_inexact 0
		.amdhsa_exception_int_div_zero 0
	.end_amdhsa_kernel
	.section	.text._ZN9rocsparseL32csrgemm_symbolic_fill_wf_per_rowILj256ELj8ELj16ELj137EliEEvT4_S1_PKS1_S3_PKT3_S3_S6_S3_S6_S3_S6_PS1_21rocsparse_index_base_S8_S8_S8_bb,"axG",@progbits,_ZN9rocsparseL32csrgemm_symbolic_fill_wf_per_rowILj256ELj8ELj16ELj137EliEEvT4_S1_PKS1_S3_PKT3_S3_S6_S3_S6_S3_S6_PS1_21rocsparse_index_base_S8_S8_S8_bb,comdat
.Lfunc_end26:
	.size	_ZN9rocsparseL32csrgemm_symbolic_fill_wf_per_rowILj256ELj8ELj16ELj137EliEEvT4_S1_PKS1_S3_PKT3_S3_S6_S3_S6_S3_S6_PS1_21rocsparse_index_base_S8_S8_S8_bb, .Lfunc_end26-_ZN9rocsparseL32csrgemm_symbolic_fill_wf_per_rowILj256ELj8ELj16ELj137EliEEvT4_S1_PKS1_S3_PKT3_S3_S6_S3_S6_S3_S6_PS1_21rocsparse_index_base_S8_S8_S8_bb
                                        ; -- End function
	.set _ZN9rocsparseL32csrgemm_symbolic_fill_wf_per_rowILj256ELj8ELj16ELj137EliEEvT4_S1_PKS1_S3_PKT3_S3_S6_S3_S6_S3_S6_PS1_21rocsparse_index_base_S8_S8_S8_bb.num_vgpr, 25
	.set _ZN9rocsparseL32csrgemm_symbolic_fill_wf_per_rowILj256ELj8ELj16ELj137EliEEvT4_S1_PKS1_S3_PKT3_S3_S6_S3_S6_S3_S6_PS1_21rocsparse_index_base_S8_S8_S8_bb.num_agpr, 0
	.set _ZN9rocsparseL32csrgemm_symbolic_fill_wf_per_rowILj256ELj8ELj16ELj137EliEEvT4_S1_PKS1_S3_PKT3_S3_S6_S3_S6_S3_S6_PS1_21rocsparse_index_base_S8_S8_S8_bb.numbered_sgpr, 30
	.set _ZN9rocsparseL32csrgemm_symbolic_fill_wf_per_rowILj256ELj8ELj16ELj137EliEEvT4_S1_PKS1_S3_PKT3_S3_S6_S3_S6_S3_S6_PS1_21rocsparse_index_base_S8_S8_S8_bb.num_named_barrier, 0
	.set _ZN9rocsparseL32csrgemm_symbolic_fill_wf_per_rowILj256ELj8ELj16ELj137EliEEvT4_S1_PKS1_S3_PKT3_S3_S6_S3_S6_S3_S6_PS1_21rocsparse_index_base_S8_S8_S8_bb.private_seg_size, 0
	.set _ZN9rocsparseL32csrgemm_symbolic_fill_wf_per_rowILj256ELj8ELj16ELj137EliEEvT4_S1_PKS1_S3_PKT3_S3_S6_S3_S6_S3_S6_PS1_21rocsparse_index_base_S8_S8_S8_bb.uses_vcc, 1
	.set _ZN9rocsparseL32csrgemm_symbolic_fill_wf_per_rowILj256ELj8ELj16ELj137EliEEvT4_S1_PKS1_S3_PKT3_S3_S6_S3_S6_S3_S6_PS1_21rocsparse_index_base_S8_S8_S8_bb.uses_flat_scratch, 0
	.set _ZN9rocsparseL32csrgemm_symbolic_fill_wf_per_rowILj256ELj8ELj16ELj137EliEEvT4_S1_PKS1_S3_PKT3_S3_S6_S3_S6_S3_S6_PS1_21rocsparse_index_base_S8_S8_S8_bb.has_dyn_sized_stack, 0
	.set _ZN9rocsparseL32csrgemm_symbolic_fill_wf_per_rowILj256ELj8ELj16ELj137EliEEvT4_S1_PKS1_S3_PKT3_S3_S6_S3_S6_S3_S6_PS1_21rocsparse_index_base_S8_S8_S8_bb.has_recursion, 0
	.set _ZN9rocsparseL32csrgemm_symbolic_fill_wf_per_rowILj256ELj8ELj16ELj137EliEEvT4_S1_PKS1_S3_PKT3_S3_S6_S3_S6_S3_S6_PS1_21rocsparse_index_base_S8_S8_S8_bb.has_indirect_call, 0
	.section	.AMDGPU.csdata,"",@progbits
; Kernel info:
; codeLenInByte = 2008
; TotalNumSgprs: 32
; NumVgprs: 25
; ScratchSize: 0
; MemoryBound: 0
; FloatMode: 240
; IeeeMode: 1
; LDSByteSize: 2048 bytes/workgroup (compile time only)
; SGPRBlocks: 0
; VGPRBlocks: 3
; NumSGPRsForWavesPerEU: 32
; NumVGPRsForWavesPerEU: 25
; Occupancy: 16
; WaveLimiterHint : 1
; COMPUTE_PGM_RSRC2:SCRATCH_EN: 0
; COMPUTE_PGM_RSRC2:USER_SGPR: 6
; COMPUTE_PGM_RSRC2:TRAP_HANDLER: 0
; COMPUTE_PGM_RSRC2:TGID_X_EN: 1
; COMPUTE_PGM_RSRC2:TGID_Y_EN: 0
; COMPUTE_PGM_RSRC2:TGID_Z_EN: 0
; COMPUTE_PGM_RSRC2:TIDIG_COMP_CNT: 0
	.section	.text._ZN9rocsparseL32csrgemm_symbolic_fill_wf_per_rowILj256ELj16ELj32ELj137EliEEvT4_S1_PKS1_S3_PKT3_S3_S6_S3_S6_S3_S6_PS1_21rocsparse_index_base_S8_S8_S8_bb,"axG",@progbits,_ZN9rocsparseL32csrgemm_symbolic_fill_wf_per_rowILj256ELj16ELj32ELj137EliEEvT4_S1_PKS1_S3_PKT3_S3_S6_S3_S6_S3_S6_PS1_21rocsparse_index_base_S8_S8_S8_bb,comdat
	.globl	_ZN9rocsparseL32csrgemm_symbolic_fill_wf_per_rowILj256ELj16ELj32ELj137EliEEvT4_S1_PKS1_S3_PKT3_S3_S6_S3_S6_S3_S6_PS1_21rocsparse_index_base_S8_S8_S8_bb ; -- Begin function _ZN9rocsparseL32csrgemm_symbolic_fill_wf_per_rowILj256ELj16ELj32ELj137EliEEvT4_S1_PKS1_S3_PKT3_S3_S6_S3_S6_S3_S6_PS1_21rocsparse_index_base_S8_S8_S8_bb
	.p2align	8
	.type	_ZN9rocsparseL32csrgemm_symbolic_fill_wf_per_rowILj256ELj16ELj32ELj137EliEEvT4_S1_PKS1_S3_PKT3_S3_S6_S3_S6_S3_S6_PS1_21rocsparse_index_base_S8_S8_S8_bb,@function
_ZN9rocsparseL32csrgemm_symbolic_fill_wf_per_rowILj256ELj16ELj32ELj137EliEEvT4_S1_PKS1_S3_PKT3_S3_S6_S3_S6_S3_S6_PS1_21rocsparse_index_base_S8_S8_S8_bb: ; @_ZN9rocsparseL32csrgemm_symbolic_fill_wf_per_rowILj256ELj16ELj32ELj137EliEEvT4_S1_PKS1_S3_PKT3_S3_S6_S3_S6_S3_S6_PS1_21rocsparse_index_base_S8_S8_S8_bb
; %bb.0:
	s_clause 0x3
	s_load_dwordx8 s[8:15], s[4:5], 0x0
	s_load_dwordx2 s[28:29], s[4:5], 0x50
	s_load_dwordx4 s[24:27], s[4:5], 0x40
	s_load_dwordx8 s[16:23], s[4:5], 0x20
	v_lshrrev_b32_e32 v1, 4, v0
	v_and_b32_e32 v13, 15, v0
	s_mov_b32 s0, 0
	v_lshlrev_b32_e32 v10, 7, v1
	v_or_b32_e32 v12, -16, v13
	v_lshl_or_b32 v11, v13, 2, v10
	v_mov_b32_e32 v3, v12
	v_mov_b32_e32 v0, v11
	s_waitcnt lgkmcnt(0)
	v_mov_b32_e32 v2, s9
.LBB27_1:                               ; =>This Inner Loop Header: Depth=1
	v_add_co_u32 v3, s1, v3, 16
	s_xor_b32 s1, s1, -1
	ds_write_b32 v0, v2
	v_add_nc_u32_e32 v0, 64, v0
	s_and_b32 s1, exec_lo, s1
	s_or_b32 s0, s1, s0
	s_andn2_b32 exec_lo, exec_lo, s0
	s_cbranch_execnz .LBB27_1
; %bb.2:
	s_or_b32 exec_lo, exec_lo, s0
	s_lshl_b32 s0, s6, 4
	s_waitcnt lgkmcnt(0)
	buffer_gl0_inv
	v_and_or_b32 v0, 0xffffff0, s0, v1
	s_mov_b32 s0, exec_lo
	v_cmpx_gt_i32_e64 s8, v0
	s_cbranch_execz .LBB27_37
; %bb.3:
	s_cmp_eq_u64 s[12:13], 0
	s_cbranch_scc1 .LBB27_5
; %bb.4:
	s_load_dword s0, s[10:11], 0x0
	s_waitcnt lgkmcnt(0)
	v_add_nc_u32_e32 v0, s0, v0
	v_ashrrev_i32_e32 v1, 31, v0
	v_lshlrev_b64 v[0:1], 2, v[0:1]
	v_add_co_u32 v0, vcc_lo, s12, v0
	v_add_co_ci_u32_e64 v1, null, s13, v1, vcc_lo
	global_load_dword v0, v[0:1], off
.LBB27_5:
	s_clause 0x1
	s_load_dword s6, s[4:5], 0x68
	s_load_dwordx4 s[0:3], s[4:5], 0x58
	s_waitcnt vmcnt(0)
	v_ashrrev_i32_e32 v1, 31, v0
	v_lshlrev_b64 v[4:5], 3, v[0:1]
	s_waitcnt lgkmcnt(0)
	s_bitcmp0_b32 s6, 0
	s_cbranch_scc1 .LBB27_21
; %bb.6:
	v_add_co_u32 v0, vcc_lo, s14, v4
	v_add_co_ci_u32_e64 v1, null, s15, v5, vcc_lo
	v_sub_co_u32 v8, s4, v13, s0
	v_sub_co_ci_u32_e64 v9, null, 0, 0, s4
	global_load_dwordx4 v[0:3], v[0:1], off
	s_mov_b32 s4, exec_lo
	s_waitcnt vmcnt(0)
	v_sub_co_u32 v6, vcc_lo, v2, s0
	v_subrev_co_ci_u32_e64 v7, null, 0, v3, vcc_lo
	v_add_co_u32 v8, vcc_lo, v0, v8
	v_add_co_ci_u32_e64 v9, null, v1, v9, vcc_lo
	v_cmpx_lt_i64_e64 v[8:9], v[6:7]
	s_cbranch_execz .LBB27_20
; %bb.7:
	s_mov_b32 s5, 0
	s_mov_b32 s7, s1
	s_branch .LBB27_9
.LBB27_8:                               ;   in Loop: Header=BB27_9 Depth=1
	s_or_b32 exec_lo, exec_lo, s8
	v_add_co_u32 v8, vcc_lo, v8, 16
	v_add_co_ci_u32_e64 v9, null, 0, v9, vcc_lo
	v_cmp_ge_i64_e32 vcc_lo, v[8:9], v[6:7]
	s_or_b32 s5, vcc_lo, s5
	s_andn2_b32 exec_lo, exec_lo, s5
	s_cbranch_execz .LBB27_20
.LBB27_9:                               ; =>This Loop Header: Depth=1
                                        ;     Child Loop BB27_12 Depth 2
                                        ;       Child Loop BB27_15 Depth 3
	v_lshlrev_b64 v[0:1], 2, v[8:9]
	s_mov_b32 s8, exec_lo
	v_add_co_u32 v0, vcc_lo, s16, v0
	v_add_co_ci_u32_e64 v1, null, s17, v1, vcc_lo
	global_load_dword v0, v[0:1], off
	s_waitcnt vmcnt(0)
	v_subrev_nc_u32_e32 v0, s0, v0
	v_ashrrev_i32_e32 v1, 31, v0
	v_lshlrev_b64 v[0:1], 3, v[0:1]
	v_add_co_u32 v0, vcc_lo, s18, v0
	v_add_co_ci_u32_e64 v1, null, s19, v1, vcc_lo
	global_load_dwordx4 v[0:3], v[0:1], off
	s_waitcnt vmcnt(0)
	v_cmpx_lt_i64_e64 v[0:1], v[2:3]
	s_cbranch_execz .LBB27_8
; %bb.10:                               ;   in Loop: Header=BB27_9 Depth=1
	v_sub_co_u32 v2, vcc_lo, v2, s7
	v_subrev_co_ci_u32_e64 v3, null, 0, v3, vcc_lo
	v_sub_co_u32 v0, vcc_lo, v0, s7
	v_subrev_co_ci_u32_e64 v1, null, 0, v1, vcc_lo
	s_mov_b32 s10, 0
	s_branch .LBB27_12
.LBB27_11:                              ;   in Loop: Header=BB27_12 Depth=2
	s_inst_prefetch 0x2
	s_or_b32 exec_lo, exec_lo, s11
	v_add_co_u32 v0, vcc_lo, v0, 1
	v_add_co_ci_u32_e64 v1, null, 0, v1, vcc_lo
	v_cmp_ge_i64_e32 vcc_lo, v[0:1], v[2:3]
	s_or_b32 s10, vcc_lo, s10
	s_andn2_b32 exec_lo, exec_lo, s10
	s_cbranch_execz .LBB27_8
.LBB27_12:                              ;   Parent Loop BB27_9 Depth=1
                                        ; =>  This Loop Header: Depth=2
                                        ;       Child Loop BB27_15 Depth 3
	v_lshlrev_b64 v[14:15], 2, v[0:1]
	s_mov_b32 s11, 0
                                        ; implicit-def: $sgpr12
	v_add_co_u32 v14, vcc_lo, s20, v14
	v_add_co_ci_u32_e64 v15, null, s21, v15, vcc_lo
	global_load_dword v14, v[14:15], off
	s_waitcnt vmcnt(0)
	v_subrev_nc_u32_e32 v14, s1, v14
	v_lshl_add_u32 v15, v14, 3, v14
	v_and_b32_e32 v15, 31, v15
	s_inst_prefetch 0x1
	s_branch .LBB27_15
	.p2align	6
.LBB27_13:                              ;   in Loop: Header=BB27_15 Depth=3
	s_or_b32 exec_lo, exec_lo, s14
	s_andn2_b32 s12, s12, exec_lo
	s_and_b32 s14, s15, exec_lo
	s_or_b32 s12, s12, s14
.LBB27_14:                              ;   in Loop: Header=BB27_15 Depth=3
	s_or_b32 exec_lo, exec_lo, s13
	s_xor_b32 s13, s12, -1
	s_and_b32 s13, exec_lo, s13
	s_or_b32 s11, s13, s11
	s_andn2_b32 exec_lo, exec_lo, s11
	s_cbranch_execz .LBB27_11
.LBB27_15:                              ;   Parent Loop BB27_9 Depth=1
                                        ;     Parent Loop BB27_12 Depth=2
                                        ; =>    This Inner Loop Header: Depth=3
	v_lshl_add_u32 v16, v15, 2, v10
	s_andn2_b32 s12, s12, exec_lo
	s_mov_b32 s13, exec_lo
	ds_read_b32 v17, v16
	s_waitcnt lgkmcnt(0)
	v_cmpx_ne_u32_e64 v17, v14
	s_cbranch_execz .LBB27_14
; %bb.16:                               ;   in Loop: Header=BB27_15 Depth=3
	s_mov_b32 s14, exec_lo
	v_cmpx_ne_u32_e64 s9, v17
	s_xor_b32 s14, exec_lo, s14
; %bb.17:                               ;   in Loop: Header=BB27_15 Depth=3
	v_add_nc_u32_e32 v15, 1, v15
                                        ; implicit-def: $vgpr16
	v_and_b32_e32 v15, 31, v15
; %bb.18:                               ;   in Loop: Header=BB27_15 Depth=3
	s_or_saveexec_b32 s14, s14
	s_mov_b32 s15, -1
	s_xor_b32 exec_lo, exec_lo, s14
	s_cbranch_execz .LBB27_13
; %bb.19:                               ;   in Loop: Header=BB27_15 Depth=3
	v_mov_b32_e32 v17, s9
	ds_cmpst_rtn_b32 v16, v16, v17, v14
	s_waitcnt lgkmcnt(0)
	v_cmp_ne_u32_e32 vcc_lo, s9, v16
	s_orn2_b32 s15, vcc_lo, exec_lo
	s_branch .LBB27_13
.LBB27_20:
	s_or_b32 exec_lo, exec_lo, s4
.LBB27_21:
	s_bfe_u32 s0, s6, 0x10008
	s_cmp_eq_u32 s0, 0
	s_cbranch_scc1 .LBB27_24
; %bb.22:
	v_add_co_u32 v0, vcc_lo, s22, v4
	v_add_co_ci_u32_e64 v1, null, s23, v5, vcc_lo
	v_sub_co_u32 v2, s0, v13, s3
	v_sub_co_ci_u32_e64 v3, null, 0, 0, s0
	global_load_dwordx4 v[6:9], v[0:1], off
	s_mov_b32 s1, 0
	s_mov_b32 s0, exec_lo
	s_waitcnt vmcnt(0)
	v_sub_co_u32 v0, vcc_lo, v8, s3
	v_subrev_co_ci_u32_e64 v1, null, 0, v9, vcc_lo
	v_add_co_u32 v2, vcc_lo, v6, v2
	v_add_co_ci_u32_e64 v3, null, v7, v3, vcc_lo
	v_cmpx_lt_i64_e64 v[2:3], v[0:1]
	s_cbranch_execnz .LBB27_29
.LBB27_23:
	s_or_b32 exec_lo, exec_lo, s0
.LBB27_24:
	v_add_co_u32 v0, vcc_lo, s26, v4
	v_add_co_ci_u32_e64 v1, null, s27, v5, vcc_lo
	buffer_gl0_inv
	s_mov_b32 s0, 0
	global_load_dwordx2 v[0:1], v[0:1], off
	s_waitcnt vmcnt(0)
	v_sub_co_u32 v0, vcc_lo, v0, s2
	v_subrev_co_ci_u32_e64 v1, null, 0, v1, vcc_lo
	v_lshlrev_b64 v[0:1], 2, v[0:1]
	v_add_co_u32 v0, vcc_lo, s28, v0
	v_add_co_ci_u32_e64 v1, null, s29, v1, vcc_lo
	s_branch .LBB27_26
.LBB27_25:                              ;   in Loop: Header=BB27_26 Depth=1
	s_or_b32 exec_lo, exec_lo, s1
	v_add_co_u32 v12, s1, v12, 16
	s_xor_b32 s1, s1, -1
	v_add_nc_u32_e32 v11, 64, v11
	s_and_b32 s1, exec_lo, s1
	s_or_b32 s0, s1, s0
	s_andn2_b32 exec_lo, exec_lo, s0
	s_cbranch_execz .LBB27_37
.LBB27_26:                              ; =>This Inner Loop Header: Depth=1
	ds_read_b32 v2, v11
	s_mov_b32 s1, exec_lo
	s_waitcnt lgkmcnt(0)
	v_cmpx_gt_i32_e64 s9, v2
	s_cbranch_execz .LBB27_25
; %bb.27:                               ;   in Loop: Header=BB27_26 Depth=1
	ds_read_b128 v[3:6], v10
	ds_read_b128 v[13:16], v10 offset:16
	ds_read_b128 v[17:20], v10 offset:32
	;; [unrolled: 1-line block ×7, first 2 shown]
	s_waitcnt lgkmcnt(7)
	v_cmp_gt_i32_e32 vcc_lo, v2, v3
	v_cndmask_b32_e64 v3, 0, 1, vcc_lo
	v_cmp_gt_i32_e32 vcc_lo, v2, v4
	v_lshlrev_b32_e32 v3, 2, v3
	v_cndmask_b32_e64 v4, 0, 1, vcc_lo
	v_cmp_gt_i32_e32 vcc_lo, v2, v5
	v_lshlrev_b32_e32 v4, 2, v4
	;; [unrolled: 3-line block ×3, first 2 shown]
	v_cndmask_b32_e64 v6, 0, 1, vcc_lo
	s_waitcnt lgkmcnt(6)
	v_cmp_gt_i32_e32 vcc_lo, v2, v13
	v_lshlrev_b32_e32 v6, 2, v6
	v_cndmask_b32_e64 v7, 0, 1, vcc_lo
	v_cmp_gt_i32_e32 vcc_lo, v2, v14
	v_cndmask_b32_e64 v8, 0, 1, vcc_lo
	v_cmp_gt_i32_e32 vcc_lo, v2, v15
	;; [unrolled: 2-line block ×3, first 2 shown]
	v_cndmask_b32_e64 v13, 0, 1, vcc_lo
	v_add_co_u32 v3, vcc_lo, v0, v3
	v_add_co_ci_u32_e64 v14, null, 0, v1, vcc_lo
	v_add_co_u32 v3, vcc_lo, v3, v4
	v_add_co_ci_u32_e64 v4, null, 0, v14, vcc_lo
	;; [unrolled: 2-line block ×3, first 2 shown]
	v_lshlrev_b32_e32 v5, 2, v7
	v_add_co_u32 v3, vcc_lo, v3, v6
	v_add_co_ci_u32_e64 v4, null, 0, v4, vcc_lo
	v_lshlrev_b32_e32 v6, 2, v8
	v_add_co_u32 v3, vcc_lo, v3, v5
	v_add_co_ci_u32_e64 v4, null, 0, v4, vcc_lo
	;; [unrolled: 3-line block ×4, first 2 shown]
	s_waitcnt lgkmcnt(5)
	v_cmp_gt_i32_e32 vcc_lo, v2, v17
	v_cndmask_b32_e64 v5, 0, 1, vcc_lo
	v_add_co_u32 v3, vcc_lo, v3, v6
	v_add_co_ci_u32_e64 v4, null, 0, v4, vcc_lo
	v_cmp_gt_i32_e32 vcc_lo, v2, v18
	v_lshlrev_b32_e32 v5, 2, v5
	v_cndmask_b32_e64 v6, 0, 1, vcc_lo
	v_cmp_gt_i32_e32 vcc_lo, v2, v19
	v_cndmask_b32_e64 v7, 0, 1, vcc_lo
	v_add_co_u32 v3, vcc_lo, v3, v5
	v_add_co_ci_u32_e64 v4, null, 0, v4, vcc_lo
	v_lshlrev_b32_e32 v5, 2, v6
	v_cmp_gt_i32_e32 vcc_lo, v2, v20
	v_lshlrev_b32_e32 v6, 2, v7
	v_cndmask_b32_e64 v7, 0, 1, vcc_lo
	v_add_co_u32 v3, vcc_lo, v3, v5
	v_add_co_ci_u32_e64 v4, null, 0, v4, vcc_lo
	v_lshlrev_b32_e32 v5, 2, v7
	v_add_co_u32 v3, vcc_lo, v3, v6
	v_add_co_ci_u32_e64 v4, null, 0, v4, vcc_lo
	s_waitcnt lgkmcnt(4)
	v_cmp_gt_i32_e32 vcc_lo, v2, v21
	v_cndmask_b32_e64 v6, 0, 1, vcc_lo
	v_add_co_u32 v3, vcc_lo, v3, v5
	v_add_co_ci_u32_e64 v4, null, 0, v4, vcc_lo
	v_cmp_gt_i32_e32 vcc_lo, v2, v22
	v_lshlrev_b32_e32 v5, 2, v6
	v_cndmask_b32_e64 v6, 0, 1, vcc_lo
	v_cmp_gt_i32_e32 vcc_lo, v2, v23
	v_cndmask_b32_e64 v7, 0, 1, vcc_lo
	v_add_co_u32 v3, vcc_lo, v3, v5
	v_add_co_ci_u32_e64 v4, null, 0, v4, vcc_lo
	v_lshlrev_b32_e32 v5, 2, v6
	v_cmp_gt_i32_e32 vcc_lo, v2, v24
	v_lshlrev_b32_e32 v6, 2, v7
	v_cndmask_b32_e64 v7, 0, 1, vcc_lo
	v_add_co_u32 v3, vcc_lo, v3, v5
	v_add_co_ci_u32_e64 v4, null, 0, v4, vcc_lo
	v_lshlrev_b32_e32 v5, 2, v7
	v_add_co_u32 v3, vcc_lo, v3, v6
	v_add_co_ci_u32_e64 v4, null, 0, v4, vcc_lo
	;; [unrolled: 21-line block ×6, first 2 shown]
	v_add_nc_u32_e32 v6, s2, v2
	v_add_co_u32 v2, vcc_lo, v3, v5
	v_add_co_ci_u32_e64 v3, null, 0, v4, vcc_lo
	global_store_dword v[2:3], v6, off
	s_branch .LBB27_25
.LBB27_28:                              ;   in Loop: Header=BB27_29 Depth=1
	s_inst_prefetch 0x2
	s_or_b32 exec_lo, exec_lo, s4
	v_add_co_u32 v2, vcc_lo, v2, 16
	v_add_co_ci_u32_e64 v3, null, 0, v3, vcc_lo
	v_cmp_ge_i64_e32 vcc_lo, v[2:3], v[0:1]
	s_or_b32 s1, vcc_lo, s1
	s_andn2_b32 exec_lo, exec_lo, s1
	s_cbranch_execz .LBB27_23
.LBB27_29:                              ; =>This Loop Header: Depth=1
                                        ;     Child Loop BB27_32 Depth 2
	v_lshlrev_b64 v[6:7], 2, v[2:3]
	s_mov_b32 s4, 0
                                        ; implicit-def: $sgpr5
	v_add_co_u32 v6, vcc_lo, s24, v6
	v_add_co_ci_u32_e64 v7, null, s25, v7, vcc_lo
	global_load_dword v6, v[6:7], off
	s_waitcnt vmcnt(0)
	v_subrev_nc_u32_e32 v6, s3, v6
	v_lshl_add_u32 v7, v6, 3, v6
	v_and_b32_e32 v7, 31, v7
	s_inst_prefetch 0x1
	s_branch .LBB27_32
	.p2align	6
.LBB27_30:                              ;   in Loop: Header=BB27_32 Depth=2
	s_or_b32 exec_lo, exec_lo, s7
	s_andn2_b32 s5, s5, exec_lo
	s_and_b32 s7, s8, exec_lo
	s_or_b32 s5, s5, s7
.LBB27_31:                              ;   in Loop: Header=BB27_32 Depth=2
	s_or_b32 exec_lo, exec_lo, s6
	s_xor_b32 s6, s5, -1
	s_and_b32 s6, exec_lo, s6
	s_or_b32 s4, s6, s4
	s_andn2_b32 exec_lo, exec_lo, s4
	s_cbranch_execz .LBB27_28
.LBB27_32:                              ;   Parent Loop BB27_29 Depth=1
                                        ; =>  This Inner Loop Header: Depth=2
	v_lshl_add_u32 v8, v7, 2, v10
	s_andn2_b32 s5, s5, exec_lo
	s_mov_b32 s6, exec_lo
	ds_read_b32 v9, v8
	s_waitcnt lgkmcnt(0)
	v_cmpx_ne_u32_e64 v9, v6
	s_cbranch_execz .LBB27_31
; %bb.33:                               ;   in Loop: Header=BB27_32 Depth=2
	s_mov_b32 s7, exec_lo
	v_cmpx_ne_u32_e64 s9, v9
	s_xor_b32 s7, exec_lo, s7
; %bb.34:                               ;   in Loop: Header=BB27_32 Depth=2
	v_add_nc_u32_e32 v7, 1, v7
                                        ; implicit-def: $vgpr8
	v_and_b32_e32 v7, 31, v7
; %bb.35:                               ;   in Loop: Header=BB27_32 Depth=2
	s_or_saveexec_b32 s7, s7
	s_mov_b32 s8, -1
	s_xor_b32 exec_lo, exec_lo, s7
	s_cbranch_execz .LBB27_30
; %bb.36:                               ;   in Loop: Header=BB27_32 Depth=2
	v_mov_b32_e32 v9, s9
	ds_cmpst_rtn_b32 v8, v8, v9, v6
	s_waitcnt lgkmcnt(0)
	v_cmp_ne_u32_e32 vcc_lo, s9, v8
	s_orn2_b32 s8, vcc_lo, exec_lo
	s_branch .LBB27_30
.LBB27_37:
	s_endpgm
	.section	.rodata,"a",@progbits
	.p2align	6, 0x0
	.amdhsa_kernel _ZN9rocsparseL32csrgemm_symbolic_fill_wf_per_rowILj256ELj16ELj32ELj137EliEEvT4_S1_PKS1_S3_PKT3_S3_S6_S3_S6_S3_S6_PS1_21rocsparse_index_base_S8_S8_S8_bb
		.amdhsa_group_segment_fixed_size 2048
		.amdhsa_private_segment_fixed_size 0
		.amdhsa_kernarg_size 108
		.amdhsa_user_sgpr_count 6
		.amdhsa_user_sgpr_private_segment_buffer 1
		.amdhsa_user_sgpr_dispatch_ptr 0
		.amdhsa_user_sgpr_queue_ptr 0
		.amdhsa_user_sgpr_kernarg_segment_ptr 1
		.amdhsa_user_sgpr_dispatch_id 0
		.amdhsa_user_sgpr_flat_scratch_init 0
		.amdhsa_user_sgpr_private_segment_size 0
		.amdhsa_wavefront_size32 1
		.amdhsa_uses_dynamic_stack 0
		.amdhsa_system_sgpr_private_segment_wavefront_offset 0
		.amdhsa_system_sgpr_workgroup_id_x 1
		.amdhsa_system_sgpr_workgroup_id_y 0
		.amdhsa_system_sgpr_workgroup_id_z 0
		.amdhsa_system_sgpr_workgroup_info 0
		.amdhsa_system_vgpr_workitem_id 0
		.amdhsa_next_free_vgpr 41
		.amdhsa_next_free_sgpr 30
		.amdhsa_reserve_vcc 1
		.amdhsa_reserve_flat_scratch 0
		.amdhsa_float_round_mode_32 0
		.amdhsa_float_round_mode_16_64 0
		.amdhsa_float_denorm_mode_32 3
		.amdhsa_float_denorm_mode_16_64 3
		.amdhsa_dx10_clamp 1
		.amdhsa_ieee_mode 1
		.amdhsa_fp16_overflow 0
		.amdhsa_workgroup_processor_mode 1
		.amdhsa_memory_ordered 1
		.amdhsa_forward_progress 1
		.amdhsa_shared_vgpr_count 0
		.amdhsa_exception_fp_ieee_invalid_op 0
		.amdhsa_exception_fp_denorm_src 0
		.amdhsa_exception_fp_ieee_div_zero 0
		.amdhsa_exception_fp_ieee_overflow 0
		.amdhsa_exception_fp_ieee_underflow 0
		.amdhsa_exception_fp_ieee_inexact 0
		.amdhsa_exception_int_div_zero 0
	.end_amdhsa_kernel
	.section	.text._ZN9rocsparseL32csrgemm_symbolic_fill_wf_per_rowILj256ELj16ELj32ELj137EliEEvT4_S1_PKS1_S3_PKT3_S3_S6_S3_S6_S3_S6_PS1_21rocsparse_index_base_S8_S8_S8_bb,"axG",@progbits,_ZN9rocsparseL32csrgemm_symbolic_fill_wf_per_rowILj256ELj16ELj32ELj137EliEEvT4_S1_PKS1_S3_PKT3_S3_S6_S3_S6_S3_S6_PS1_21rocsparse_index_base_S8_S8_S8_bb,comdat
.Lfunc_end27:
	.size	_ZN9rocsparseL32csrgemm_symbolic_fill_wf_per_rowILj256ELj16ELj32ELj137EliEEvT4_S1_PKS1_S3_PKT3_S3_S6_S3_S6_S3_S6_PS1_21rocsparse_index_base_S8_S8_S8_bb, .Lfunc_end27-_ZN9rocsparseL32csrgemm_symbolic_fill_wf_per_rowILj256ELj16ELj32ELj137EliEEvT4_S1_PKS1_S3_PKT3_S3_S6_S3_S6_S3_S6_PS1_21rocsparse_index_base_S8_S8_S8_bb
                                        ; -- End function
	.set _ZN9rocsparseL32csrgemm_symbolic_fill_wf_per_rowILj256ELj16ELj32ELj137EliEEvT4_S1_PKS1_S3_PKT3_S3_S6_S3_S6_S3_S6_PS1_21rocsparse_index_base_S8_S8_S8_bb.num_vgpr, 41
	.set _ZN9rocsparseL32csrgemm_symbolic_fill_wf_per_rowILj256ELj16ELj32ELj137EliEEvT4_S1_PKS1_S3_PKT3_S3_S6_S3_S6_S3_S6_PS1_21rocsparse_index_base_S8_S8_S8_bb.num_agpr, 0
	.set _ZN9rocsparseL32csrgemm_symbolic_fill_wf_per_rowILj256ELj16ELj32ELj137EliEEvT4_S1_PKS1_S3_PKT3_S3_S6_S3_S6_S3_S6_PS1_21rocsparse_index_base_S8_S8_S8_bb.numbered_sgpr, 30
	.set _ZN9rocsparseL32csrgemm_symbolic_fill_wf_per_rowILj256ELj16ELj32ELj137EliEEvT4_S1_PKS1_S3_PKT3_S3_S6_S3_S6_S3_S6_PS1_21rocsparse_index_base_S8_S8_S8_bb.num_named_barrier, 0
	.set _ZN9rocsparseL32csrgemm_symbolic_fill_wf_per_rowILj256ELj16ELj32ELj137EliEEvT4_S1_PKS1_S3_PKT3_S3_S6_S3_S6_S3_S6_PS1_21rocsparse_index_base_S8_S8_S8_bb.private_seg_size, 0
	.set _ZN9rocsparseL32csrgemm_symbolic_fill_wf_per_rowILj256ELj16ELj32ELj137EliEEvT4_S1_PKS1_S3_PKT3_S3_S6_S3_S6_S3_S6_PS1_21rocsparse_index_base_S8_S8_S8_bb.uses_vcc, 1
	.set _ZN9rocsparseL32csrgemm_symbolic_fill_wf_per_rowILj256ELj16ELj32ELj137EliEEvT4_S1_PKS1_S3_PKT3_S3_S6_S3_S6_S3_S6_PS1_21rocsparse_index_base_S8_S8_S8_bb.uses_flat_scratch, 0
	.set _ZN9rocsparseL32csrgemm_symbolic_fill_wf_per_rowILj256ELj16ELj32ELj137EliEEvT4_S1_PKS1_S3_PKT3_S3_S6_S3_S6_S3_S6_PS1_21rocsparse_index_base_S8_S8_S8_bb.has_dyn_sized_stack, 0
	.set _ZN9rocsparseL32csrgemm_symbolic_fill_wf_per_rowILj256ELj16ELj32ELj137EliEEvT4_S1_PKS1_S3_PKT3_S3_S6_S3_S6_S3_S6_PS1_21rocsparse_index_base_S8_S8_S8_bb.has_recursion, 0
	.set _ZN9rocsparseL32csrgemm_symbolic_fill_wf_per_rowILj256ELj16ELj32ELj137EliEEvT4_S1_PKS1_S3_PKT3_S3_S6_S3_S6_S3_S6_PS1_21rocsparse_index_base_S8_S8_S8_bb.has_indirect_call, 0
	.section	.AMDGPU.csdata,"",@progbits
; Kernel info:
; codeLenInByte = 2520
; TotalNumSgprs: 32
; NumVgprs: 41
; ScratchSize: 0
; MemoryBound: 0
; FloatMode: 240
; IeeeMode: 1
; LDSByteSize: 2048 bytes/workgroup (compile time only)
; SGPRBlocks: 0
; VGPRBlocks: 5
; NumSGPRsForWavesPerEU: 32
; NumVGPRsForWavesPerEU: 41
; Occupancy: 16
; WaveLimiterHint : 1
; COMPUTE_PGM_RSRC2:SCRATCH_EN: 0
; COMPUTE_PGM_RSRC2:USER_SGPR: 6
; COMPUTE_PGM_RSRC2:TRAP_HANDLER: 0
; COMPUTE_PGM_RSRC2:TGID_X_EN: 1
; COMPUTE_PGM_RSRC2:TGID_Y_EN: 0
; COMPUTE_PGM_RSRC2:TGID_Z_EN: 0
; COMPUTE_PGM_RSRC2:TIDIG_COMP_CNT: 0
	.section	.text._ZN9rocsparseL35csrgemm_symbolic_fill_block_per_rowILj128ELj16ELj256ELj137ELj32EliEEvT5_PKS1_S3_PKT4_S3_S6_S3_S6_S3_S6_PS1_21rocsparse_index_base_S8_S8_S8_bb,"axG",@progbits,_ZN9rocsparseL35csrgemm_symbolic_fill_block_per_rowILj128ELj16ELj256ELj137ELj32EliEEvT5_PKS1_S3_PKT4_S3_S6_S3_S6_S3_S6_PS1_21rocsparse_index_base_S8_S8_S8_bb,comdat
	.globl	_ZN9rocsparseL35csrgemm_symbolic_fill_block_per_rowILj128ELj16ELj256ELj137ELj32EliEEvT5_PKS1_S3_PKT4_S3_S6_S3_S6_S3_S6_PS1_21rocsparse_index_base_S8_S8_S8_bb ; -- Begin function _ZN9rocsparseL35csrgemm_symbolic_fill_block_per_rowILj128ELj16ELj256ELj137ELj32EliEEvT5_PKS1_S3_PKT4_S3_S6_S3_S6_S3_S6_PS1_21rocsparse_index_base_S8_S8_S8_bb
	.p2align	8
	.type	_ZN9rocsparseL35csrgemm_symbolic_fill_block_per_rowILj128ELj16ELj256ELj137ELj32EliEEvT5_PKS1_S3_PKT4_S3_S6_S3_S6_S3_S6_PS1_21rocsparse_index_base_S8_S8_S8_bb,@function
_ZN9rocsparseL35csrgemm_symbolic_fill_block_per_rowILj128ELj16ELj256ELj137ELj32EliEEvT5_PKS1_S3_PKT4_S3_S6_S3_S6_S3_S6_PS1_21rocsparse_index_base_S8_S8_S8_bb: ; @_ZN9rocsparseL35csrgemm_symbolic_fill_block_per_rowILj128ELj16ELj256ELj137ELj32EliEEvT5_PKS1_S3_PKT4_S3_S6_S3_S6_S3_S6_PS1_21rocsparse_index_base_S8_S8_S8_bb
; %bb.0:
	s_clause 0x3
	s_load_dwordx4 s[24:27], s[4:5], 0x48
	s_load_dwordx8 s[8:15], s[4:5], 0x28
	s_load_dword s28, s[4:5], 0x0
	s_load_dwordx8 s[16:23], s[4:5], 0x8
	v_cmp_gt_u32_e64 s0, 0x100, v0
	v_or_b32_e32 v7, 0xffffff80, v0
	v_lshl_add_u32 v8, v0, 2, 0
	s_and_saveexec_b32 s1, s0
	s_cbranch_execz .LBB28_3
; %bb.1:
	v_or_b32_e32 v1, 0xffffff80, v0
	v_lshl_add_u32 v2, v0, 2, 0
	s_waitcnt lgkmcnt(0)
	v_mov_b32_e32 v3, s28
	s_mov_b32 s2, 0
.LBB28_2:                               ; =>This Inner Loop Header: Depth=1
	v_add_co_u32 v1, s3, 0x80, v1
	s_xor_b32 s3, s3, -1
	ds_write_b32 v2, v3
	v_add_nc_u32_e32 v2, 0x200, v2
	s_and_b32 s3, exec_lo, s3
	s_or_b32 s2, s3, s2
	s_andn2_b32 exec_lo, exec_lo, s2
	s_cbranch_execnz .LBB28_2
.LBB28_3:
	s_or_b32 exec_lo, exec_lo, s1
	s_load_dword s1, s[4:5], 0x68
	s_waitcnt lgkmcnt(0)
	s_barrier
	buffer_gl0_inv
	s_load_dword s2, s[16:17], 0x0
	s_mov_b32 s3, 0
	s_bitcmp1_b32 s1, 0
	s_cselect_b32 s17, -1, 0
	s_waitcnt lgkmcnt(0)
	s_add_i32 s2, s2, s6
	s_lshl_b64 s[2:3], s[2:3], 2
	s_add_u32 s2, s18, s2
	s_addc_u32 s3, s19, s3
	s_load_dwordx4 s[4:7], s[4:5], 0x58
	s_load_dword s16, s[2:3], 0x0
	s_and_b32 vcc_lo, exec_lo, s17
	s_cbranch_vccz .LBB28_19
; %bb.4:
	s_waitcnt lgkmcnt(0)
	s_ashr_i32 s17, s16, 31
	v_lshrrev_b32_e32 v1, 4, v0
	s_lshl_b64 s[2:3], s[16:17], 3
	s_mov_b32 s17, exec_lo
	s_add_u32 s2, s20, s2
	s_addc_u32 s3, s21, s3
	s_load_dwordx4 s[36:39], s[2:3], 0x0
	v_sub_co_u32 v1, s2, v1, s4
	v_sub_co_ci_u32_e64 v2, null, 0, 0, s2
	s_waitcnt lgkmcnt(0)
	v_add_co_u32 v1, vcc_lo, s36, v1
	v_add_co_ci_u32_e64 v2, null, s37, v2, vcc_lo
	s_sub_u32 s2, s38, s4
	s_subb_u32 s3, s39, 0
	v_cmpx_gt_i64_e64 s[2:3], v[1:2]
	s_cbranch_execz .LBB28_18
; %bb.5:
	v_and_b32_e32 v3, 15, v0
	s_mov_b32 s19, s5
	v_sub_co_u32 v9, s18, v3, s5
	v_sub_co_ci_u32_e64 v10, null, 0, 0, s18
	s_mov_b32 s18, 0
	s_branch .LBB28_7
.LBB28_6:                               ;   in Loop: Header=BB28_7 Depth=1
	s_or_b32 exec_lo, exec_lo, s20
	v_add_co_u32 v1, vcc_lo, v1, 8
	v_add_co_ci_u32_e64 v2, null, 0, v2, vcc_lo
	v_cmp_le_i64_e32 vcc_lo, s[2:3], v[1:2]
	s_or_b32 s18, vcc_lo, s18
	s_andn2_b32 exec_lo, exec_lo, s18
	s_cbranch_execz .LBB28_18
.LBB28_7:                               ; =>This Loop Header: Depth=1
                                        ;     Child Loop BB28_10 Depth 2
                                        ;       Child Loop BB28_13 Depth 3
	v_lshlrev_b64 v[3:4], 2, v[1:2]
	s_mov_b32 s20, exec_lo
	v_add_co_u32 v3, vcc_lo, s22, v3
	v_add_co_ci_u32_e64 v4, null, s23, v4, vcc_lo
	global_load_dword v3, v[3:4], off
	s_waitcnt vmcnt(0)
	v_subrev_nc_u32_e32 v3, s4, v3
	v_ashrrev_i32_e32 v4, 31, v3
	v_lshlrev_b64 v[3:4], 3, v[3:4]
	v_add_co_u32 v3, vcc_lo, s8, v3
	v_add_co_ci_u32_e64 v4, null, s9, v4, vcc_lo
	global_load_dwordx4 v[11:14], v[3:4], off
	s_waitcnt vmcnt(0)
	v_sub_co_u32 v3, vcc_lo, v13, s19
	v_subrev_co_ci_u32_e64 v4, null, 0, v14, vcc_lo
	v_add_co_u32 v5, vcc_lo, v11, v9
	v_add_co_ci_u32_e64 v6, null, v12, v10, vcc_lo
	v_cmpx_lt_i64_e64 v[5:6], v[3:4]
	s_cbranch_execz .LBB28_6
; %bb.8:                                ;   in Loop: Header=BB28_7 Depth=1
	s_mov_b32 s21, 0
	s_branch .LBB28_10
.LBB28_9:                               ;   in Loop: Header=BB28_10 Depth=2
	s_inst_prefetch 0x2
	s_or_b32 exec_lo, exec_lo, s29
	v_add_co_u32 v5, vcc_lo, v5, 16
	v_add_co_ci_u32_e64 v6, null, 0, v6, vcc_lo
	v_cmp_ge_i64_e32 vcc_lo, v[5:6], v[3:4]
	s_or_b32 s21, vcc_lo, s21
	s_andn2_b32 exec_lo, exec_lo, s21
	s_cbranch_execz .LBB28_6
.LBB28_10:                              ;   Parent Loop BB28_7 Depth=1
                                        ; =>  This Loop Header: Depth=2
                                        ;       Child Loop BB28_13 Depth 3
	v_lshlrev_b64 v[11:12], 2, v[5:6]
	s_mov_b32 s29, 0
                                        ; implicit-def: $sgpr30
	v_add_co_u32 v11, vcc_lo, s10, v11
	v_add_co_ci_u32_e64 v12, null, s11, v12, vcc_lo
	global_load_dword v11, v[11:12], off
	s_waitcnt vmcnt(0)
	v_subrev_nc_u32_e32 v11, s5, v11
	v_mul_lo_u32 v12, 0x89, v11
	v_and_b32_e32 v12, 0xff, v12
	s_inst_prefetch 0x1
	s_branch .LBB28_13
	.p2align	6
.LBB28_11:                              ;   in Loop: Header=BB28_13 Depth=3
	s_or_b32 exec_lo, exec_lo, s33
	s_andn2_b32 s30, s30, exec_lo
	s_and_b32 s33, s34, exec_lo
	s_or_b32 s30, s30, s33
.LBB28_12:                              ;   in Loop: Header=BB28_13 Depth=3
	s_or_b32 exec_lo, exec_lo, s31
	s_xor_b32 s31, s30, -1
	s_and_b32 s31, exec_lo, s31
	s_or_b32 s29, s31, s29
	s_andn2_b32 exec_lo, exec_lo, s29
	s_cbranch_execz .LBB28_9
.LBB28_13:                              ;   Parent Loop BB28_7 Depth=1
                                        ;     Parent Loop BB28_10 Depth=2
                                        ; =>    This Inner Loop Header: Depth=3
	v_lshl_add_u32 v13, v12, 2, 0
	s_andn2_b32 s30, s30, exec_lo
	s_mov_b32 s31, exec_lo
	ds_read_b32 v14, v13
	s_waitcnt lgkmcnt(0)
	v_cmpx_ne_u32_e64 v14, v11
	s_cbranch_execz .LBB28_12
; %bb.14:                               ;   in Loop: Header=BB28_13 Depth=3
	s_mov_b32 s33, exec_lo
	v_cmpx_ne_u32_e64 s28, v14
	s_xor_b32 s33, exec_lo, s33
; %bb.15:                               ;   in Loop: Header=BB28_13 Depth=3
	v_add_nc_u32_e32 v12, 1, v12
                                        ; implicit-def: $vgpr13
	v_and_b32_e32 v12, 0xff, v12
; %bb.16:                               ;   in Loop: Header=BB28_13 Depth=3
	s_or_saveexec_b32 s33, s33
	s_mov_b32 s34, -1
	s_xor_b32 exec_lo, exec_lo, s33
	s_cbranch_execz .LBB28_11
; %bb.17:                               ;   in Loop: Header=BB28_13 Depth=3
	v_mov_b32_e32 v14, s28
	ds_cmpst_rtn_b32 v13, v13, v14, v11
	s_waitcnt lgkmcnt(0)
	v_cmp_ne_u32_e32 vcc_lo, s28, v13
	s_orn2_b32 s34, vcc_lo, exec_lo
	s_branch .LBB28_11
.LBB28_18:
	s_or_b32 exec_lo, exec_lo, s17
.LBB28_19:
	s_bfe_u32 s1, s1, 0x10008
	s_cmp_eq_u32 s1, 0
	s_cbranch_scc1 .LBB28_22
; %bb.20:
	s_waitcnt lgkmcnt(0)
	s_ashr_i32 s17, s16, 31
	v_sub_co_u32 v1, s1, v0, s7
	s_lshl_b64 s[2:3], s[16:17], 3
	v_sub_co_ci_u32_e64 v2, null, 0, 0, s1
	s_add_u32 s2, s12, s2
	s_addc_u32 s3, s13, s3
	s_mov_b32 s4, 0
	s_load_dwordx4 s[8:11], s[2:3], 0x0
	s_mov_b32 s1, exec_lo
	s_waitcnt lgkmcnt(0)
	v_add_co_u32 v1, vcc_lo, s8, v1
	v_add_co_ci_u32_e64 v2, null, s9, v2, vcc_lo
	s_sub_u32 s2, s10, s7
	s_subb_u32 s3, s11, 0
	v_cmpx_gt_i64_e64 s[2:3], v[1:2]
	s_cbranch_execnz .LBB28_36
.LBB28_21:
	s_or_b32 exec_lo, exec_lo, s1
.LBB28_22:
	s_waitcnt lgkmcnt(0)
	s_barrier
	buffer_gl0_inv
	s_and_saveexec_b32 s4, s0
	s_cbranch_execz .LBB28_44
; %bb.23:
	v_mbcnt_lo_u32_b32 v2, -1, 0
	v_lshrrev_b32_e32 v3, 3, v0
	v_mov_b32_e32 v1, 0
	v_cmp_lt_u32_e64 s0, 31, v0
	v_cmp_lt_u32_e64 s1, 63, v0
	v_xor_b32_e32 v2, 31, v2
	v_and_b32_e32 v3, 12, v3
	v_cmp_lt_u32_e64 s2, 0x5f, v0
	v_mov_b32_e32 v4, 0
	s_mov_b32 s5, 0
	v_lshrrev_b32_e64 v2, v2, -1
	v_add_nc_u32_e32 v3, 0, v3
	v_cmp_eq_u32_e32 vcc_lo, 0x7f, v0
	s_branch .LBB28_25
.LBB28_24:                              ;   in Loop: Header=BB28_25 Depth=1
	s_or_b32 exec_lo, exec_lo, s3
	s_waitcnt lgkmcnt(0)
	s_barrier
	buffer_gl0_inv
	ds_read_b32 v5, v1 offset:1036
	v_add_co_u32 v7, s3, 0x80, v7
	s_xor_b32 s3, s3, -1
	v_add_nc_u32_e32 v8, 0x200, v8
	s_and_b32 s3, exec_lo, s3
	s_or_b32 s5, s3, s5
	s_waitcnt lgkmcnt(0)
	v_add_nc_u32_e32 v4, v5, v4
	s_andn2_b32 exec_lo, exec_lo, s5
	s_cbranch_execz .LBB28_44
.LBB28_25:                              ; =>This Inner Loop Header: Depth=1
	ds_read_b32 v5, v8
	s_waitcnt lgkmcnt(0)
	s_barrier
	buffer_gl0_inv
	v_cmp_gt_i32_e64 s3, s28, v5
	v_and_b32_e32 v6, s3, v2
	s_bcnt1_i32_b32 s7, s3
	v_mov_b32_e32 v9, s7
	v_bcnt_u32_b32 v6, v6, 0
	ds_write_b32 v3, v9 offset:1024
	s_waitcnt lgkmcnt(0)
	s_barrier
	buffer_gl0_inv
	s_and_saveexec_b32 s7, s0
	s_cbranch_execnz .LBB28_30
; %bb.26:                               ;   in Loop: Header=BB28_25 Depth=1
	s_or_b32 exec_lo, exec_lo, s7
	s_and_saveexec_b32 s7, s1
	s_cbranch_execnz .LBB28_31
.LBB28_27:                              ;   in Loop: Header=BB28_25 Depth=1
	s_or_b32 exec_lo, exec_lo, s7
	s_and_saveexec_b32 s7, s2
	s_cbranch_execnz .LBB28_32
.LBB28_28:                              ;   in Loop: Header=BB28_25 Depth=1
	s_or_b32 exec_lo, exec_lo, s7
	s_and_saveexec_b32 s7, s3
	s_cbranch_execnz .LBB28_33
.LBB28_29:                              ;   in Loop: Header=BB28_25 Depth=1
	s_or_b32 exec_lo, exec_lo, s7
	s_and_saveexec_b32 s3, vcc_lo
	s_cbranch_execz .LBB28_24
	s_branch .LBB28_34
.LBB28_30:                              ;   in Loop: Header=BB28_25 Depth=1
	ds_read_b32 v9, v1 offset:1024
	s_waitcnt lgkmcnt(0)
	v_add_nc_u32_e32 v6, v9, v6
	s_or_b32 exec_lo, exec_lo, s7
	s_and_saveexec_b32 s7, s1
	s_cbranch_execz .LBB28_27
.LBB28_31:                              ;   in Loop: Header=BB28_25 Depth=1
	ds_read_b32 v9, v1 offset:1028
	s_waitcnt lgkmcnt(0)
	v_add_nc_u32_e32 v6, v9, v6
	s_or_b32 exec_lo, exec_lo, s7
	s_and_saveexec_b32 s7, s2
	s_cbranch_execz .LBB28_28
.LBB28_32:                              ;   in Loop: Header=BB28_25 Depth=1
	ds_read_b32 v9, v1 offset:1032
	s_waitcnt lgkmcnt(0)
	v_add_nc_u32_e32 v6, v9, v6
	s_or_b32 exec_lo, exec_lo, s7
	s_and_saveexec_b32 s7, s3
	s_cbranch_execz .LBB28_29
.LBB28_33:                              ;   in Loop: Header=BB28_25 Depth=1
	v_lshlrev_b32_e32 v9, 2, v4
	v_lshlrev_b32_e32 v10, 2, v6
	v_add_nc_u32_e32 v9, 0, v9
	v_add3_u32 v9, v9, v10, -4
	ds_write_b32 v9, v5
	s_or_b32 exec_lo, exec_lo, s7
	s_and_saveexec_b32 s3, vcc_lo
	s_cbranch_execz .LBB28_24
.LBB28_34:                              ;   in Loop: Header=BB28_25 Depth=1
	ds_write_b32 v1, v6 offset:1036
	s_branch .LBB28_24
.LBB28_35:                              ;   in Loop: Header=BB28_36 Depth=1
	s_inst_prefetch 0x2
	s_or_b32 exec_lo, exec_lo, s5
	v_add_co_u32 v1, vcc_lo, 0x80, v1
	v_add_co_ci_u32_e64 v2, null, 0, v2, vcc_lo
	v_cmp_le_i64_e32 vcc_lo, s[2:3], v[1:2]
	s_or_b32 s4, vcc_lo, s4
	s_andn2_b32 exec_lo, exec_lo, s4
	s_cbranch_execz .LBB28_21
.LBB28_36:                              ; =>This Loop Header: Depth=1
                                        ;     Child Loop BB28_39 Depth 2
	v_lshlrev_b64 v[3:4], 2, v[1:2]
	s_mov_b32 s5, 0
                                        ; implicit-def: $sgpr8
	v_add_co_u32 v3, vcc_lo, s14, v3
	v_add_co_ci_u32_e64 v4, null, s15, v4, vcc_lo
	global_load_dword v3, v[3:4], off
	s_waitcnt vmcnt(0)
	v_subrev_nc_u32_e32 v3, s7, v3
	v_mul_lo_u32 v4, 0x89, v3
	v_and_b32_e32 v4, 0xff, v4
	s_inst_prefetch 0x1
	s_branch .LBB28_39
	.p2align	6
.LBB28_37:                              ;   in Loop: Header=BB28_39 Depth=2
	s_or_b32 exec_lo, exec_lo, s10
	s_andn2_b32 s8, s8, exec_lo
	s_and_b32 s10, s11, exec_lo
	s_or_b32 s8, s8, s10
.LBB28_38:                              ;   in Loop: Header=BB28_39 Depth=2
	s_or_b32 exec_lo, exec_lo, s9
	s_xor_b32 s9, s8, -1
	s_and_b32 s9, exec_lo, s9
	s_or_b32 s5, s9, s5
	s_andn2_b32 exec_lo, exec_lo, s5
	s_cbranch_execz .LBB28_35
.LBB28_39:                              ;   Parent Loop BB28_36 Depth=1
                                        ; =>  This Inner Loop Header: Depth=2
	v_lshl_add_u32 v5, v4, 2, 0
	s_andn2_b32 s8, s8, exec_lo
	s_mov_b32 s9, exec_lo
	ds_read_b32 v6, v5
	s_waitcnt lgkmcnt(0)
	v_cmpx_ne_u32_e64 v6, v3
	s_cbranch_execz .LBB28_38
; %bb.40:                               ;   in Loop: Header=BB28_39 Depth=2
	s_mov_b32 s10, exec_lo
	v_cmpx_ne_u32_e64 s28, v6
	s_xor_b32 s10, exec_lo, s10
; %bb.41:                               ;   in Loop: Header=BB28_39 Depth=2
	v_add_nc_u32_e32 v4, 1, v4
                                        ; implicit-def: $vgpr5
	v_and_b32_e32 v4, 0xff, v4
; %bb.42:                               ;   in Loop: Header=BB28_39 Depth=2
	s_or_saveexec_b32 s10, s10
	s_mov_b32 s11, -1
	s_xor_b32 exec_lo, exec_lo, s10
	s_cbranch_execz .LBB28_37
; %bb.43:                               ;   in Loop: Header=BB28_39 Depth=2
	v_mov_b32_e32 v6, s28
	ds_cmpst_rtn_b32 v5, v5, v6, v3
	s_waitcnt lgkmcnt(0)
	v_cmp_ne_u32_e32 vcc_lo, s28, v5
	s_orn2_b32 s11, vcc_lo, exec_lo
	s_branch .LBB28_37
.LBB28_44:
	s_or_b32 exec_lo, exec_lo, s4
	s_ashr_i32 s17, s16, 31
	s_mov_b32 s4, exec_lo
	s_lshl_b64 s[0:1], s[16:17], 3
	s_add_u32 s0, s24, s0
	s_addc_u32 s1, s25, s1
	s_load_dwordx4 s[0:3], s[0:1], 0x0
	s_waitcnt lgkmcnt(0)
	s_sub_i32 s3, s2, s0
	v_cmpx_gt_i32_e64 s3, v0
	s_cbranch_execz .LBB28_54
; %bb.45:
	s_sub_u32 s4, s0, s6
	s_subb_u32 s5, s1, 0
	s_sub_i32 s0, s0, s2
	s_and_b32 s1, s3, 7
	s_cmp_lt_u32 s0, -7
	s_mov_b32 s9, 0
	s_cselect_b32 s2, -1, 0
	s_and_b32 s7, s3, -8
	s_cmp_lg_u32 s1, 0
	s_cselect_b32 s8, -1, 0
	s_branch .LBB28_47
.LBB28_46:                              ;   in Loop: Header=BB28_47 Depth=1
	v_lshlrev_b64 v[1:2], 2, v[1:2]
	v_add_nc_u32_e32 v0, 0x80, v0
	s_waitcnt lgkmcnt(0)
	v_add_nc_u32_e32 v3, s6, v3
	v_cmp_le_i32_e32 vcc_lo, s3, v0
	v_add_co_u32 v1, s0, s26, v1
	v_add_co_ci_u32_e64 v2, null, s27, v2, s0
	s_or_b32 s9, vcc_lo, s9
	global_store_dword v[1:2], v3, off
	s_andn2_b32 exec_lo, exec_lo, s9
	s_cbranch_execz .LBB28_54
.LBB28_47:                              ; =>This Loop Header: Depth=1
                                        ;     Child Loop BB28_49 Depth 2
                                        ;     Child Loop BB28_53 Depth 2
	v_lshl_add_u32 v1, v0, 2, 0
	s_andn2_b32 vcc_lo, exec_lo, s2
	s_mov_b32 s0, 0
	ds_read_b32 v3, v1
	v_mov_b32_e32 v1, s4
	v_mov_b32_e32 v2, s5
	s_cbranch_vccnz .LBB28_51
; %bb.48:                               ;   in Loop: Header=BB28_47 Depth=1
	v_mov_b32_e32 v1, s4
	v_mov_b32_e32 v2, s5
	s_mov_b32 s10, 0
	s_mov_b32 s11, 0
.LBB28_49:                              ;   Parent Loop BB28_47 Depth=1
                                        ; =>  This Inner Loop Header: Depth=2
	v_mov_b32_e32 v10, s11
	s_add_i32 s10, s10, 8
	s_add_i32 s11, s11, 32
	s_cmp_eq_u32 s7, s10
	ds_read2_b32 v[4:5], v10 offset1:1
	ds_read2_b32 v[6:7], v10 offset0:2 offset1:3
	ds_read2_b32 v[8:9], v10 offset0:4 offset1:5
	;; [unrolled: 1-line block ×3, first 2 shown]
	s_waitcnt lgkmcnt(3)
	v_cmp_gt_i32_e32 vcc_lo, v3, v4
	v_cndmask_b32_e64 v4, 0, 1, vcc_lo
	v_cmp_gt_i32_e32 vcc_lo, v3, v5
	v_cndmask_b32_e64 v5, 0, 1, vcc_lo
	s_waitcnt lgkmcnt(2)
	v_cmp_gt_i32_e32 vcc_lo, v3, v6
	v_cndmask_b32_e64 v6, 0, 1, vcc_lo
	v_cmp_gt_i32_e32 vcc_lo, v3, v7
	v_cndmask_b32_e64 v7, 0, 1, vcc_lo
	s_waitcnt lgkmcnt(1)
	v_cmp_gt_i32_e32 vcc_lo, v3, v8
	v_cndmask_b32_e64 v8, 0, 1, vcc_lo
	v_add_co_u32 v1, vcc_lo, v1, v4
	v_add_co_ci_u32_e64 v2, null, 0, v2, vcc_lo
	v_cmp_gt_i32_e32 vcc_lo, v3, v9
	v_add_co_u32 v1, s0, v1, v5
	v_add_co_ci_u32_e64 v2, null, 0, v2, s0
	v_cndmask_b32_e64 v4, 0, 1, vcc_lo
	v_add_co_u32 v1, vcc_lo, v1, v6
	v_add_co_ci_u32_e64 v2, null, 0, v2, vcc_lo
	s_waitcnt lgkmcnt(0)
	v_cmp_gt_i32_e32 vcc_lo, v3, v10
	v_add_co_u32 v1, s0, v1, v7
	v_add_co_ci_u32_e64 v2, null, 0, v2, s0
	v_cndmask_b32_e64 v5, 0, 1, vcc_lo
	v_add_co_u32 v1, vcc_lo, v1, v8
	v_add_co_ci_u32_e64 v2, null, 0, v2, vcc_lo
	v_cmp_gt_i32_e32 vcc_lo, v3, v11
	v_add_co_u32 v1, s0, v1, v4
	v_add_co_ci_u32_e64 v2, null, 0, v2, s0
	v_cndmask_b32_e64 v4, 0, 1, vcc_lo
	v_add_co_u32 v1, vcc_lo, v1, v5
	v_add_co_ci_u32_e64 v2, null, 0, v2, vcc_lo
	v_add_co_u32 v1, vcc_lo, v1, v4
	v_add_co_ci_u32_e64 v2, null, 0, v2, vcc_lo
	s_cbranch_scc0 .LBB28_49
; %bb.50:                               ;   in Loop: Header=BB28_47 Depth=1
	s_mov_b32 s0, s7
.LBB28_51:                              ;   in Loop: Header=BB28_47 Depth=1
	s_andn2_b32 vcc_lo, exec_lo, s8
	s_cbranch_vccnz .LBB28_46
; %bb.52:                               ;   in Loop: Header=BB28_47 Depth=1
	s_lshl_b32 s0, s0, 2
	s_mov_b32 s10, s1
	s_add_i32 s0, s0, 0
.LBB28_53:                              ;   Parent Loop BB28_47 Depth=1
                                        ; =>  This Inner Loop Header: Depth=2
	v_mov_b32_e32 v4, s0
	s_add_i32 s10, s10, -1
	s_add_i32 s0, s0, 4
	s_cmp_lg_u32 s10, 0
	ds_read_b32 v4, v4
	s_waitcnt lgkmcnt(0)
	v_cmp_gt_i32_e32 vcc_lo, v3, v4
	v_cndmask_b32_e64 v4, 0, 1, vcc_lo
	v_add_co_u32 v1, vcc_lo, v1, v4
	v_add_co_ci_u32_e64 v2, null, 0, v2, vcc_lo
	s_cbranch_scc1 .LBB28_53
	s_branch .LBB28_46
.LBB28_54:
	s_endpgm
	.section	.rodata,"a",@progbits
	.p2align	6, 0x0
	.amdhsa_kernel _ZN9rocsparseL35csrgemm_symbolic_fill_block_per_rowILj128ELj16ELj256ELj137ELj32EliEEvT5_PKS1_S3_PKT4_S3_S6_S3_S6_S3_S6_PS1_21rocsparse_index_base_S8_S8_S8_bb
		.amdhsa_group_segment_fixed_size 0
		.amdhsa_private_segment_fixed_size 0
		.amdhsa_kernarg_size 108
		.amdhsa_user_sgpr_count 6
		.amdhsa_user_sgpr_private_segment_buffer 1
		.amdhsa_user_sgpr_dispatch_ptr 0
		.amdhsa_user_sgpr_queue_ptr 0
		.amdhsa_user_sgpr_kernarg_segment_ptr 1
		.amdhsa_user_sgpr_dispatch_id 0
		.amdhsa_user_sgpr_flat_scratch_init 0
		.amdhsa_user_sgpr_private_segment_size 0
		.amdhsa_wavefront_size32 1
		.amdhsa_uses_dynamic_stack 0
		.amdhsa_system_sgpr_private_segment_wavefront_offset 0
		.amdhsa_system_sgpr_workgroup_id_x 1
		.amdhsa_system_sgpr_workgroup_id_y 0
		.amdhsa_system_sgpr_workgroup_id_z 0
		.amdhsa_system_sgpr_workgroup_info 0
		.amdhsa_system_vgpr_workitem_id 0
		.amdhsa_next_free_vgpr 15
		.amdhsa_next_free_sgpr 40
		.amdhsa_reserve_vcc 1
		.amdhsa_reserve_flat_scratch 0
		.amdhsa_float_round_mode_32 0
		.amdhsa_float_round_mode_16_64 0
		.amdhsa_float_denorm_mode_32 3
		.amdhsa_float_denorm_mode_16_64 3
		.amdhsa_dx10_clamp 1
		.amdhsa_ieee_mode 1
		.amdhsa_fp16_overflow 0
		.amdhsa_workgroup_processor_mode 1
		.amdhsa_memory_ordered 1
		.amdhsa_forward_progress 1
		.amdhsa_shared_vgpr_count 0
		.amdhsa_exception_fp_ieee_invalid_op 0
		.amdhsa_exception_fp_denorm_src 0
		.amdhsa_exception_fp_ieee_div_zero 0
		.amdhsa_exception_fp_ieee_overflow 0
		.amdhsa_exception_fp_ieee_underflow 0
		.amdhsa_exception_fp_ieee_inexact 0
		.amdhsa_exception_int_div_zero 0
	.end_amdhsa_kernel
	.section	.text._ZN9rocsparseL35csrgemm_symbolic_fill_block_per_rowILj128ELj16ELj256ELj137ELj32EliEEvT5_PKS1_S3_PKT4_S3_S6_S3_S6_S3_S6_PS1_21rocsparse_index_base_S8_S8_S8_bb,"axG",@progbits,_ZN9rocsparseL35csrgemm_symbolic_fill_block_per_rowILj128ELj16ELj256ELj137ELj32EliEEvT5_PKS1_S3_PKT4_S3_S6_S3_S6_S3_S6_PS1_21rocsparse_index_base_S8_S8_S8_bb,comdat
.Lfunc_end28:
	.size	_ZN9rocsparseL35csrgemm_symbolic_fill_block_per_rowILj128ELj16ELj256ELj137ELj32EliEEvT5_PKS1_S3_PKT4_S3_S6_S3_S6_S3_S6_PS1_21rocsparse_index_base_S8_S8_S8_bb, .Lfunc_end28-_ZN9rocsparseL35csrgemm_symbolic_fill_block_per_rowILj128ELj16ELj256ELj137ELj32EliEEvT5_PKS1_S3_PKT4_S3_S6_S3_S6_S3_S6_PS1_21rocsparse_index_base_S8_S8_S8_bb
                                        ; -- End function
	.set _ZN9rocsparseL35csrgemm_symbolic_fill_block_per_rowILj128ELj16ELj256ELj137ELj32EliEEvT5_PKS1_S3_PKT4_S3_S6_S3_S6_S3_S6_PS1_21rocsparse_index_base_S8_S8_S8_bb.num_vgpr, 15
	.set _ZN9rocsparseL35csrgemm_symbolic_fill_block_per_rowILj128ELj16ELj256ELj137ELj32EliEEvT5_PKS1_S3_PKT4_S3_S6_S3_S6_S3_S6_PS1_21rocsparse_index_base_S8_S8_S8_bb.num_agpr, 0
	.set _ZN9rocsparseL35csrgemm_symbolic_fill_block_per_rowILj128ELj16ELj256ELj137ELj32EliEEvT5_PKS1_S3_PKT4_S3_S6_S3_S6_S3_S6_PS1_21rocsparse_index_base_S8_S8_S8_bb.numbered_sgpr, 40
	.set _ZN9rocsparseL35csrgemm_symbolic_fill_block_per_rowILj128ELj16ELj256ELj137ELj32EliEEvT5_PKS1_S3_PKT4_S3_S6_S3_S6_S3_S6_PS1_21rocsparse_index_base_S8_S8_S8_bb.num_named_barrier, 0
	.set _ZN9rocsparseL35csrgemm_symbolic_fill_block_per_rowILj128ELj16ELj256ELj137ELj32EliEEvT5_PKS1_S3_PKT4_S3_S6_S3_S6_S3_S6_PS1_21rocsparse_index_base_S8_S8_S8_bb.private_seg_size, 0
	.set _ZN9rocsparseL35csrgemm_symbolic_fill_block_per_rowILj128ELj16ELj256ELj137ELj32EliEEvT5_PKS1_S3_PKT4_S3_S6_S3_S6_S3_S6_PS1_21rocsparse_index_base_S8_S8_S8_bb.uses_vcc, 1
	.set _ZN9rocsparseL35csrgemm_symbolic_fill_block_per_rowILj128ELj16ELj256ELj137ELj32EliEEvT5_PKS1_S3_PKT4_S3_S6_S3_S6_S3_S6_PS1_21rocsparse_index_base_S8_S8_S8_bb.uses_flat_scratch, 0
	.set _ZN9rocsparseL35csrgemm_symbolic_fill_block_per_rowILj128ELj16ELj256ELj137ELj32EliEEvT5_PKS1_S3_PKT4_S3_S6_S3_S6_S3_S6_PS1_21rocsparse_index_base_S8_S8_S8_bb.has_dyn_sized_stack, 0
	.set _ZN9rocsparseL35csrgemm_symbolic_fill_block_per_rowILj128ELj16ELj256ELj137ELj32EliEEvT5_PKS1_S3_PKT4_S3_S6_S3_S6_S3_S6_PS1_21rocsparse_index_base_S8_S8_S8_bb.has_recursion, 0
	.set _ZN9rocsparseL35csrgemm_symbolic_fill_block_per_rowILj128ELj16ELj256ELj137ELj32EliEEvT5_PKS1_S3_PKT4_S3_S6_S3_S6_S3_S6_PS1_21rocsparse_index_base_S8_S8_S8_bb.has_indirect_call, 0
	.section	.AMDGPU.csdata,"",@progbits
; Kernel info:
; codeLenInByte = 2348
; TotalNumSgprs: 42
; NumVgprs: 15
; ScratchSize: 0
; MemoryBound: 0
; FloatMode: 240
; IeeeMode: 1
; LDSByteSize: 0 bytes/workgroup (compile time only)
; SGPRBlocks: 0
; VGPRBlocks: 1
; NumSGPRsForWavesPerEU: 42
; NumVGPRsForWavesPerEU: 15
; Occupancy: 16
; WaveLimiterHint : 1
; COMPUTE_PGM_RSRC2:SCRATCH_EN: 0
; COMPUTE_PGM_RSRC2:USER_SGPR: 6
; COMPUTE_PGM_RSRC2:TRAP_HANDLER: 0
; COMPUTE_PGM_RSRC2:TGID_X_EN: 1
; COMPUTE_PGM_RSRC2:TGID_Y_EN: 0
; COMPUTE_PGM_RSRC2:TGID_Z_EN: 0
; COMPUTE_PGM_RSRC2:TIDIG_COMP_CNT: 0
	.section	.text._ZN9rocsparseL35csrgemm_symbolic_fill_block_per_rowILj128ELj16ELj256ELj137ELj64EliEEvT5_PKS1_S3_PKT4_S3_S6_S3_S6_S3_S6_PS1_21rocsparse_index_base_S8_S8_S8_bb,"axG",@progbits,_ZN9rocsparseL35csrgemm_symbolic_fill_block_per_rowILj128ELj16ELj256ELj137ELj64EliEEvT5_PKS1_S3_PKT4_S3_S6_S3_S6_S3_S6_PS1_21rocsparse_index_base_S8_S8_S8_bb,comdat
	.globl	_ZN9rocsparseL35csrgemm_symbolic_fill_block_per_rowILj128ELj16ELj256ELj137ELj64EliEEvT5_PKS1_S3_PKT4_S3_S6_S3_S6_S3_S6_PS1_21rocsparse_index_base_S8_S8_S8_bb ; -- Begin function _ZN9rocsparseL35csrgemm_symbolic_fill_block_per_rowILj128ELj16ELj256ELj137ELj64EliEEvT5_PKS1_S3_PKT4_S3_S6_S3_S6_S3_S6_PS1_21rocsparse_index_base_S8_S8_S8_bb
	.p2align	8
	.type	_ZN9rocsparseL35csrgemm_symbolic_fill_block_per_rowILj128ELj16ELj256ELj137ELj64EliEEvT5_PKS1_S3_PKT4_S3_S6_S3_S6_S3_S6_PS1_21rocsparse_index_base_S8_S8_S8_bb,@function
_ZN9rocsparseL35csrgemm_symbolic_fill_block_per_rowILj128ELj16ELj256ELj137ELj64EliEEvT5_PKS1_S3_PKT4_S3_S6_S3_S6_S3_S6_PS1_21rocsparse_index_base_S8_S8_S8_bb: ; @_ZN9rocsparseL35csrgemm_symbolic_fill_block_per_rowILj128ELj16ELj256ELj137ELj64EliEEvT5_PKS1_S3_PKT4_S3_S6_S3_S6_S3_S6_PS1_21rocsparse_index_base_S8_S8_S8_bb
; %bb.0:
	s_clause 0x3
	s_load_dwordx4 s[24:27], s[4:5], 0x48
	s_load_dwordx8 s[8:15], s[4:5], 0x28
	s_load_dword s28, s[4:5], 0x0
	s_load_dwordx8 s[16:23], s[4:5], 0x8
	v_cmp_gt_u32_e64 s0, 0x100, v0
	v_or_b32_e32 v7, 0xffffff80, v0
	v_lshl_add_u32 v8, v0, 2, 0
	s_and_saveexec_b32 s1, s0
	s_cbranch_execz .LBB29_3
; %bb.1:
	v_or_b32_e32 v1, 0xffffff80, v0
	v_lshl_add_u32 v2, v0, 2, 0
	s_waitcnt lgkmcnt(0)
	v_mov_b32_e32 v3, s28
	s_mov_b32 s2, 0
.LBB29_2:                               ; =>This Inner Loop Header: Depth=1
	v_add_co_u32 v1, s3, 0x80, v1
	s_xor_b32 s3, s3, -1
	ds_write_b32 v2, v3
	v_add_nc_u32_e32 v2, 0x200, v2
	s_and_b32 s3, exec_lo, s3
	s_or_b32 s2, s3, s2
	s_andn2_b32 exec_lo, exec_lo, s2
	s_cbranch_execnz .LBB29_2
.LBB29_3:
	s_or_b32 exec_lo, exec_lo, s1
	s_load_dword s1, s[4:5], 0x68
	s_waitcnt lgkmcnt(0)
	s_barrier
	buffer_gl0_inv
	s_load_dword s2, s[16:17], 0x0
	s_mov_b32 s3, 0
	v_lshrrev_b32_e32 v9, 4, v0
	s_bitcmp1_b32 s1, 0
	s_cselect_b32 s16, -1, 0
	s_waitcnt lgkmcnt(0)
	s_add_i32 s2, s2, s6
	s_lshl_b64 s[2:3], s[2:3], 2
	s_add_u32 s2, s18, s2
	s_addc_u32 s3, s19, s3
	s_load_dwordx4 s[4:7], s[4:5], 0x58
	s_load_dword s2, s[2:3], 0x0
	s_and_b32 vcc_lo, exec_lo, s16
	s_cbranch_vccz .LBB29_19
; %bb.4:
	s_waitcnt lgkmcnt(0)
	s_ashr_i32 s3, s2, 31
	s_lshl_b64 s[16:17], s[2:3], 3
	v_sub_co_u32 v1, s3, v9, s4
	s_add_u32 s16, s20, s16
	s_addc_u32 s17, s21, s17
	v_sub_co_ci_u32_e64 v2, null, 0, 0, s3
	s_load_dwordx4 s[16:19], s[16:17], 0x0
	s_mov_b32 s3, exec_lo
	s_waitcnt lgkmcnt(0)
	v_add_co_u32 v1, vcc_lo, s16, v1
	v_add_co_ci_u32_e64 v2, null, s17, v2, vcc_lo
	s_sub_u32 s16, s18, s4
	s_subb_u32 s17, s19, 0
	v_cmpx_gt_i64_e64 s[16:17], v[1:2]
	s_cbranch_execz .LBB29_18
; %bb.5:
	v_and_b32_e32 v3, 15, v0
	s_mov_b32 s19, s5
	v_sub_co_u32 v10, s18, v3, s5
	v_sub_co_ci_u32_e64 v11, null, 0, 0, s18
	s_mov_b32 s18, 0
	s_branch .LBB29_7
.LBB29_6:                               ;   in Loop: Header=BB29_7 Depth=1
	s_or_b32 exec_lo, exec_lo, s20
	v_add_co_u32 v1, vcc_lo, v1, 8
	v_add_co_ci_u32_e64 v2, null, 0, v2, vcc_lo
	v_cmp_le_i64_e32 vcc_lo, s[16:17], v[1:2]
	s_or_b32 s18, vcc_lo, s18
	s_andn2_b32 exec_lo, exec_lo, s18
	s_cbranch_execz .LBB29_18
.LBB29_7:                               ; =>This Loop Header: Depth=1
                                        ;     Child Loop BB29_10 Depth 2
                                        ;       Child Loop BB29_13 Depth 3
	v_lshlrev_b64 v[3:4], 2, v[1:2]
	s_mov_b32 s20, exec_lo
	v_add_co_u32 v3, vcc_lo, s22, v3
	v_add_co_ci_u32_e64 v4, null, s23, v4, vcc_lo
	global_load_dword v3, v[3:4], off
	s_waitcnt vmcnt(0)
	v_subrev_nc_u32_e32 v3, s4, v3
	v_ashrrev_i32_e32 v4, 31, v3
	v_lshlrev_b64 v[3:4], 3, v[3:4]
	v_add_co_u32 v3, vcc_lo, s8, v3
	v_add_co_ci_u32_e64 v4, null, s9, v4, vcc_lo
	global_load_dwordx4 v[12:15], v[3:4], off
	s_waitcnt vmcnt(0)
	v_sub_co_u32 v3, vcc_lo, v14, s19
	v_subrev_co_ci_u32_e64 v4, null, 0, v15, vcc_lo
	v_add_co_u32 v5, vcc_lo, v12, v10
	v_add_co_ci_u32_e64 v6, null, v13, v11, vcc_lo
	v_cmpx_lt_i64_e64 v[5:6], v[3:4]
	s_cbranch_execz .LBB29_6
; %bb.8:                                ;   in Loop: Header=BB29_7 Depth=1
	s_mov_b32 s21, 0
	s_branch .LBB29_10
.LBB29_9:                               ;   in Loop: Header=BB29_10 Depth=2
	s_inst_prefetch 0x2
	s_or_b32 exec_lo, exec_lo, s29
	v_add_co_u32 v5, vcc_lo, v5, 16
	v_add_co_ci_u32_e64 v6, null, 0, v6, vcc_lo
	v_cmp_ge_i64_e32 vcc_lo, v[5:6], v[3:4]
	s_or_b32 s21, vcc_lo, s21
	s_andn2_b32 exec_lo, exec_lo, s21
	s_cbranch_execz .LBB29_6
.LBB29_10:                              ;   Parent Loop BB29_7 Depth=1
                                        ; =>  This Loop Header: Depth=2
                                        ;       Child Loop BB29_13 Depth 3
	v_lshlrev_b64 v[12:13], 2, v[5:6]
	s_mov_b32 s29, 0
                                        ; implicit-def: $sgpr30
	v_add_co_u32 v12, vcc_lo, s10, v12
	v_add_co_ci_u32_e64 v13, null, s11, v13, vcc_lo
	global_load_dword v12, v[12:13], off
	s_waitcnt vmcnt(0)
	v_subrev_nc_u32_e32 v12, s5, v12
	v_mul_lo_u32 v13, 0x89, v12
	v_and_b32_e32 v13, 0xff, v13
	s_inst_prefetch 0x1
	s_branch .LBB29_13
	.p2align	6
.LBB29_11:                              ;   in Loop: Header=BB29_13 Depth=3
	s_or_b32 exec_lo, exec_lo, s33
	s_andn2_b32 s30, s30, exec_lo
	s_and_b32 s33, s34, exec_lo
	s_or_b32 s30, s30, s33
.LBB29_12:                              ;   in Loop: Header=BB29_13 Depth=3
	s_or_b32 exec_lo, exec_lo, s31
	s_xor_b32 s31, s30, -1
	s_and_b32 s31, exec_lo, s31
	s_or_b32 s29, s31, s29
	s_andn2_b32 exec_lo, exec_lo, s29
	s_cbranch_execz .LBB29_9
.LBB29_13:                              ;   Parent Loop BB29_7 Depth=1
                                        ;     Parent Loop BB29_10 Depth=2
                                        ; =>    This Inner Loop Header: Depth=3
	v_lshl_add_u32 v14, v13, 2, 0
	s_andn2_b32 s30, s30, exec_lo
	s_mov_b32 s31, exec_lo
	ds_read_b32 v15, v14
	s_waitcnt lgkmcnt(0)
	v_cmpx_ne_u32_e64 v15, v12
	s_cbranch_execz .LBB29_12
; %bb.14:                               ;   in Loop: Header=BB29_13 Depth=3
	s_mov_b32 s33, exec_lo
	v_cmpx_ne_u32_e64 s28, v15
	s_xor_b32 s33, exec_lo, s33
; %bb.15:                               ;   in Loop: Header=BB29_13 Depth=3
	v_add_nc_u32_e32 v13, 1, v13
                                        ; implicit-def: $vgpr14
	v_and_b32_e32 v13, 0xff, v13
; %bb.16:                               ;   in Loop: Header=BB29_13 Depth=3
	s_or_saveexec_b32 s33, s33
	s_mov_b32 s34, -1
	s_xor_b32 exec_lo, exec_lo, s33
	s_cbranch_execz .LBB29_11
; %bb.17:                               ;   in Loop: Header=BB29_13 Depth=3
	v_mov_b32_e32 v15, s28
	ds_cmpst_rtn_b32 v14, v14, v15, v12
	s_waitcnt lgkmcnt(0)
	v_cmp_ne_u32_e32 vcc_lo, s28, v14
	s_orn2_b32 s34, vcc_lo, exec_lo
	s_branch .LBB29_11
.LBB29_18:
	s_or_b32 exec_lo, exec_lo, s3
.LBB29_19:
	s_bfe_u32 s1, s1, 0x10008
	s_cmp_eq_u32 s1, 0
	s_cbranch_scc1 .LBB29_22
; %bb.20:
	s_waitcnt lgkmcnt(0)
	s_ashr_i32 s3, s2, 31
	v_sub_co_u32 v1, s1, v0, s7
	s_lshl_b64 s[4:5], s[2:3], 3
	v_sub_co_ci_u32_e64 v2, null, 0, 0, s1
	s_add_u32 s4, s12, s4
	s_addc_u32 s5, s13, s5
	s_mov_b32 s3, 0
	s_load_dwordx4 s[8:11], s[4:5], 0x0
	s_mov_b32 s1, exec_lo
	s_waitcnt lgkmcnt(0)
	v_add_co_u32 v1, vcc_lo, s8, v1
	v_add_co_ci_u32_e64 v2, null, s9, v2, vcc_lo
	s_sub_u32 s4, s10, s7
	s_subb_u32 s5, s11, 0
	v_cmpx_gt_i64_e64 s[4:5], v[1:2]
	s_cbranch_execnz .LBB29_32
.LBB29_21:
	s_or_b32 exec_lo, exec_lo, s1
.LBB29_22:
	s_waitcnt lgkmcnt(0)
	s_barrier
	buffer_gl0_inv
	s_and_saveexec_b32 s3, s0
	s_cbranch_execz .LBB29_40
; %bb.23:
	v_mbcnt_lo_u32_b32 v1, -1, 0
	v_and_b32_e32 v2, 4, v9
	v_cmp_eq_u32_e64 s0, 0x7f, v0
	v_mov_b32_e32 v4, 0
	s_mov_b32 s4, 0
	v_xor_b32_e32 v3, 31, v1
	v_mov_b32_e32 v1, 0
	v_add_nc_u32_e32 v2, 0, v2
	v_cmp_lt_u32_e32 vcc_lo, 63, v0
	v_lshrrev_b32_e64 v3, v3, -1
	s_branch .LBB29_25
.LBB29_24:                              ;   in Loop: Header=BB29_25 Depth=1
	s_or_b32 exec_lo, exec_lo, s1
	s_waitcnt lgkmcnt(0)
	s_barrier
	buffer_gl0_inv
	ds_read_b32 v5, v1 offset:1028
	v_add_co_u32 v7, s1, 0x80, v7
	s_xor_b32 s1, s1, -1
	v_add_nc_u32_e32 v8, 0x200, v8
	s_and_b32 s1, exec_lo, s1
	s_or_b32 s4, s1, s4
	s_waitcnt lgkmcnt(0)
	v_add_nc_u32_e32 v4, v5, v4
	s_andn2_b32 exec_lo, exec_lo, s4
	s_cbranch_execz .LBB29_40
.LBB29_25:                              ; =>This Inner Loop Header: Depth=1
	ds_read_b32 v5, v8
	s_waitcnt lgkmcnt(0)
	s_barrier
	buffer_gl0_inv
	v_cmp_gt_i32_e64 s1, s28, v5
	v_and_b32_e32 v6, s1, v3
	s_bcnt1_i32_b32 s5, s1
	v_mov_b32_e32 v9, s5
	v_bcnt_u32_b32 v6, v6, 0
	ds_write_b32 v2, v9 offset:1024
	s_waitcnt lgkmcnt(0)
	s_barrier
	buffer_gl0_inv
	s_and_saveexec_b32 s5, vcc_lo
	s_cbranch_execnz .LBB29_28
; %bb.26:                               ;   in Loop: Header=BB29_25 Depth=1
	s_or_b32 exec_lo, exec_lo, s5
	s_and_saveexec_b32 s5, s1
	s_cbranch_execnz .LBB29_29
.LBB29_27:                              ;   in Loop: Header=BB29_25 Depth=1
	s_or_b32 exec_lo, exec_lo, s5
	s_and_saveexec_b32 s1, s0
	s_cbranch_execz .LBB29_24
	s_branch .LBB29_30
.LBB29_28:                              ;   in Loop: Header=BB29_25 Depth=1
	ds_read_b32 v9, v1 offset:1024
	s_waitcnt lgkmcnt(0)
	v_add_nc_u32_e32 v6, v9, v6
	s_or_b32 exec_lo, exec_lo, s5
	s_and_saveexec_b32 s5, s1
	s_cbranch_execz .LBB29_27
.LBB29_29:                              ;   in Loop: Header=BB29_25 Depth=1
	v_lshlrev_b32_e32 v9, 2, v4
	v_lshlrev_b32_e32 v10, 2, v6
	v_add_nc_u32_e32 v9, 0, v9
	v_add3_u32 v9, v9, v10, -4
	ds_write_b32 v9, v5
	s_or_b32 exec_lo, exec_lo, s5
	s_and_saveexec_b32 s1, s0
	s_cbranch_execz .LBB29_24
.LBB29_30:                              ;   in Loop: Header=BB29_25 Depth=1
	ds_write_b32 v1, v6 offset:1028
	s_branch .LBB29_24
.LBB29_31:                              ;   in Loop: Header=BB29_32 Depth=1
	s_inst_prefetch 0x2
	s_or_b32 exec_lo, exec_lo, s8
	v_add_co_u32 v1, vcc_lo, 0x80, v1
	v_add_co_ci_u32_e64 v2, null, 0, v2, vcc_lo
	v_cmp_le_i64_e32 vcc_lo, s[4:5], v[1:2]
	s_or_b32 s3, vcc_lo, s3
	s_andn2_b32 exec_lo, exec_lo, s3
	s_cbranch_execz .LBB29_21
.LBB29_32:                              ; =>This Loop Header: Depth=1
                                        ;     Child Loop BB29_35 Depth 2
	v_lshlrev_b64 v[3:4], 2, v[1:2]
	s_mov_b32 s8, 0
                                        ; implicit-def: $sgpr9
	v_add_co_u32 v3, vcc_lo, s14, v3
	v_add_co_ci_u32_e64 v4, null, s15, v4, vcc_lo
	global_load_dword v3, v[3:4], off
	s_waitcnt vmcnt(0)
	v_subrev_nc_u32_e32 v3, s7, v3
	v_mul_lo_u32 v4, 0x89, v3
	v_and_b32_e32 v4, 0xff, v4
	s_inst_prefetch 0x1
	s_branch .LBB29_35
	.p2align	6
.LBB29_33:                              ;   in Loop: Header=BB29_35 Depth=2
	s_or_b32 exec_lo, exec_lo, s11
	s_andn2_b32 s9, s9, exec_lo
	s_and_b32 s11, s12, exec_lo
	s_or_b32 s9, s9, s11
.LBB29_34:                              ;   in Loop: Header=BB29_35 Depth=2
	s_or_b32 exec_lo, exec_lo, s10
	s_xor_b32 s10, s9, -1
	s_and_b32 s10, exec_lo, s10
	s_or_b32 s8, s10, s8
	s_andn2_b32 exec_lo, exec_lo, s8
	s_cbranch_execz .LBB29_31
.LBB29_35:                              ;   Parent Loop BB29_32 Depth=1
                                        ; =>  This Inner Loop Header: Depth=2
	v_lshl_add_u32 v5, v4, 2, 0
	s_andn2_b32 s9, s9, exec_lo
	s_mov_b32 s10, exec_lo
	ds_read_b32 v6, v5
	s_waitcnt lgkmcnt(0)
	v_cmpx_ne_u32_e64 v6, v3
	s_cbranch_execz .LBB29_34
; %bb.36:                               ;   in Loop: Header=BB29_35 Depth=2
	s_mov_b32 s11, exec_lo
	v_cmpx_ne_u32_e64 s28, v6
	s_xor_b32 s11, exec_lo, s11
; %bb.37:                               ;   in Loop: Header=BB29_35 Depth=2
	v_add_nc_u32_e32 v4, 1, v4
                                        ; implicit-def: $vgpr5
	v_and_b32_e32 v4, 0xff, v4
; %bb.38:                               ;   in Loop: Header=BB29_35 Depth=2
	s_or_saveexec_b32 s11, s11
	s_mov_b32 s12, -1
	s_xor_b32 exec_lo, exec_lo, s11
	s_cbranch_execz .LBB29_33
; %bb.39:                               ;   in Loop: Header=BB29_35 Depth=2
	v_mov_b32_e32 v6, s28
	ds_cmpst_rtn_b32 v5, v5, v6, v3
	s_waitcnt lgkmcnt(0)
	v_cmp_ne_u32_e32 vcc_lo, s28, v5
	s_orn2_b32 s12, vcc_lo, exec_lo
	s_branch .LBB29_33
.LBB29_40:
	s_or_b32 exec_lo, exec_lo, s3
	s_ashr_i32 s3, s2, 31
	s_mov_b32 s4, exec_lo
	s_lshl_b64 s[0:1], s[2:3], 3
	s_add_u32 s0, s24, s0
	s_addc_u32 s1, s25, s1
	s_load_dwordx4 s[0:3], s[0:1], 0x0
	s_waitcnt lgkmcnt(0)
	s_sub_i32 s3, s2, s0
	v_cmpx_gt_i32_e64 s3, v0
	s_cbranch_execz .LBB29_50
; %bb.41:
	s_sub_u32 s4, s0, s6
	s_subb_u32 s5, s1, 0
	s_sub_i32 s0, s0, s2
	s_and_b32 s1, s3, 7
	s_cmp_lt_u32 s0, -7
	s_mov_b32 s9, 0
	s_cselect_b32 s2, -1, 0
	s_and_b32 s7, s3, -8
	s_cmp_lg_u32 s1, 0
	s_cselect_b32 s8, -1, 0
	s_branch .LBB29_43
.LBB29_42:                              ;   in Loop: Header=BB29_43 Depth=1
	v_lshlrev_b64 v[1:2], 2, v[1:2]
	v_add_nc_u32_e32 v0, 0x80, v0
	s_waitcnt lgkmcnt(0)
	v_add_nc_u32_e32 v3, s6, v3
	v_cmp_le_i32_e32 vcc_lo, s3, v0
	v_add_co_u32 v1, s0, s26, v1
	v_add_co_ci_u32_e64 v2, null, s27, v2, s0
	s_or_b32 s9, vcc_lo, s9
	global_store_dword v[1:2], v3, off
	s_andn2_b32 exec_lo, exec_lo, s9
	s_cbranch_execz .LBB29_50
.LBB29_43:                              ; =>This Loop Header: Depth=1
                                        ;     Child Loop BB29_45 Depth 2
                                        ;     Child Loop BB29_49 Depth 2
	v_lshl_add_u32 v1, v0, 2, 0
	s_andn2_b32 vcc_lo, exec_lo, s2
	s_mov_b32 s0, 0
	ds_read_b32 v3, v1
	v_mov_b32_e32 v1, s4
	v_mov_b32_e32 v2, s5
	s_cbranch_vccnz .LBB29_47
; %bb.44:                               ;   in Loop: Header=BB29_43 Depth=1
	v_mov_b32_e32 v1, s4
	v_mov_b32_e32 v2, s5
	s_mov_b32 s10, 0
	s_mov_b32 s11, 0
.LBB29_45:                              ;   Parent Loop BB29_43 Depth=1
                                        ; =>  This Inner Loop Header: Depth=2
	v_mov_b32_e32 v10, s11
	s_add_i32 s10, s10, 8
	s_add_i32 s11, s11, 32
	s_cmp_eq_u32 s7, s10
	ds_read2_b32 v[4:5], v10 offset1:1
	ds_read2_b32 v[6:7], v10 offset0:2 offset1:3
	ds_read2_b32 v[8:9], v10 offset0:4 offset1:5
	;; [unrolled: 1-line block ×3, first 2 shown]
	s_waitcnt lgkmcnt(3)
	v_cmp_gt_i32_e32 vcc_lo, v3, v4
	v_cndmask_b32_e64 v4, 0, 1, vcc_lo
	v_cmp_gt_i32_e32 vcc_lo, v3, v5
	v_cndmask_b32_e64 v5, 0, 1, vcc_lo
	s_waitcnt lgkmcnt(2)
	v_cmp_gt_i32_e32 vcc_lo, v3, v6
	v_cndmask_b32_e64 v6, 0, 1, vcc_lo
	v_cmp_gt_i32_e32 vcc_lo, v3, v7
	v_cndmask_b32_e64 v7, 0, 1, vcc_lo
	s_waitcnt lgkmcnt(1)
	v_cmp_gt_i32_e32 vcc_lo, v3, v8
	v_cndmask_b32_e64 v8, 0, 1, vcc_lo
	v_add_co_u32 v1, vcc_lo, v1, v4
	v_add_co_ci_u32_e64 v2, null, 0, v2, vcc_lo
	v_cmp_gt_i32_e32 vcc_lo, v3, v9
	v_add_co_u32 v1, s0, v1, v5
	v_add_co_ci_u32_e64 v2, null, 0, v2, s0
	v_cndmask_b32_e64 v4, 0, 1, vcc_lo
	v_add_co_u32 v1, vcc_lo, v1, v6
	v_add_co_ci_u32_e64 v2, null, 0, v2, vcc_lo
	s_waitcnt lgkmcnt(0)
	v_cmp_gt_i32_e32 vcc_lo, v3, v10
	v_add_co_u32 v1, s0, v1, v7
	v_add_co_ci_u32_e64 v2, null, 0, v2, s0
	v_cndmask_b32_e64 v5, 0, 1, vcc_lo
	v_add_co_u32 v1, vcc_lo, v1, v8
	v_add_co_ci_u32_e64 v2, null, 0, v2, vcc_lo
	v_cmp_gt_i32_e32 vcc_lo, v3, v11
	v_add_co_u32 v1, s0, v1, v4
	v_add_co_ci_u32_e64 v2, null, 0, v2, s0
	v_cndmask_b32_e64 v4, 0, 1, vcc_lo
	v_add_co_u32 v1, vcc_lo, v1, v5
	v_add_co_ci_u32_e64 v2, null, 0, v2, vcc_lo
	v_add_co_u32 v1, vcc_lo, v1, v4
	v_add_co_ci_u32_e64 v2, null, 0, v2, vcc_lo
	s_cbranch_scc0 .LBB29_45
; %bb.46:                               ;   in Loop: Header=BB29_43 Depth=1
	s_mov_b32 s0, s7
.LBB29_47:                              ;   in Loop: Header=BB29_43 Depth=1
	s_andn2_b32 vcc_lo, exec_lo, s8
	s_cbranch_vccnz .LBB29_42
; %bb.48:                               ;   in Loop: Header=BB29_43 Depth=1
	s_lshl_b32 s0, s0, 2
	s_mov_b32 s10, s1
	s_add_i32 s0, s0, 0
.LBB29_49:                              ;   Parent Loop BB29_43 Depth=1
                                        ; =>  This Inner Loop Header: Depth=2
	v_mov_b32_e32 v4, s0
	s_add_i32 s10, s10, -1
	s_add_i32 s0, s0, 4
	s_cmp_lg_u32 s10, 0
	ds_read_b32 v4, v4
	s_waitcnt lgkmcnt(0)
	v_cmp_gt_i32_e32 vcc_lo, v3, v4
	v_cndmask_b32_e64 v4, 0, 1, vcc_lo
	v_add_co_u32 v1, vcc_lo, v1, v4
	v_add_co_ci_u32_e64 v2, null, 0, v2, vcc_lo
	s_cbranch_scc1 .LBB29_49
	s_branch .LBB29_42
.LBB29_50:
	s_endpgm
	.section	.rodata,"a",@progbits
	.p2align	6, 0x0
	.amdhsa_kernel _ZN9rocsparseL35csrgemm_symbolic_fill_block_per_rowILj128ELj16ELj256ELj137ELj64EliEEvT5_PKS1_S3_PKT4_S3_S6_S3_S6_S3_S6_PS1_21rocsparse_index_base_S8_S8_S8_bb
		.amdhsa_group_segment_fixed_size 0
		.amdhsa_private_segment_fixed_size 0
		.amdhsa_kernarg_size 108
		.amdhsa_user_sgpr_count 6
		.amdhsa_user_sgpr_private_segment_buffer 1
		.amdhsa_user_sgpr_dispatch_ptr 0
		.amdhsa_user_sgpr_queue_ptr 0
		.amdhsa_user_sgpr_kernarg_segment_ptr 1
		.amdhsa_user_sgpr_dispatch_id 0
		.amdhsa_user_sgpr_flat_scratch_init 0
		.amdhsa_user_sgpr_private_segment_size 0
		.amdhsa_wavefront_size32 1
		.amdhsa_uses_dynamic_stack 0
		.amdhsa_system_sgpr_private_segment_wavefront_offset 0
		.amdhsa_system_sgpr_workgroup_id_x 1
		.amdhsa_system_sgpr_workgroup_id_y 0
		.amdhsa_system_sgpr_workgroup_id_z 0
		.amdhsa_system_sgpr_workgroup_info 0
		.amdhsa_system_vgpr_workitem_id 0
		.amdhsa_next_free_vgpr 16
		.amdhsa_next_free_sgpr 35
		.amdhsa_reserve_vcc 1
		.amdhsa_reserve_flat_scratch 0
		.amdhsa_float_round_mode_32 0
		.amdhsa_float_round_mode_16_64 0
		.amdhsa_float_denorm_mode_32 3
		.amdhsa_float_denorm_mode_16_64 3
		.amdhsa_dx10_clamp 1
		.amdhsa_ieee_mode 1
		.amdhsa_fp16_overflow 0
		.amdhsa_workgroup_processor_mode 1
		.amdhsa_memory_ordered 1
		.amdhsa_forward_progress 1
		.amdhsa_shared_vgpr_count 0
		.amdhsa_exception_fp_ieee_invalid_op 0
		.amdhsa_exception_fp_denorm_src 0
		.amdhsa_exception_fp_ieee_div_zero 0
		.amdhsa_exception_fp_ieee_overflow 0
		.amdhsa_exception_fp_ieee_underflow 0
		.amdhsa_exception_fp_ieee_inexact 0
		.amdhsa_exception_int_div_zero 0
	.end_amdhsa_kernel
	.section	.text._ZN9rocsparseL35csrgemm_symbolic_fill_block_per_rowILj128ELj16ELj256ELj137ELj64EliEEvT5_PKS1_S3_PKT4_S3_S6_S3_S6_S3_S6_PS1_21rocsparse_index_base_S8_S8_S8_bb,"axG",@progbits,_ZN9rocsparseL35csrgemm_symbolic_fill_block_per_rowILj128ELj16ELj256ELj137ELj64EliEEvT5_PKS1_S3_PKT4_S3_S6_S3_S6_S3_S6_PS1_21rocsparse_index_base_S8_S8_S8_bb,comdat
.Lfunc_end29:
	.size	_ZN9rocsparseL35csrgemm_symbolic_fill_block_per_rowILj128ELj16ELj256ELj137ELj64EliEEvT5_PKS1_S3_PKT4_S3_S6_S3_S6_S3_S6_PS1_21rocsparse_index_base_S8_S8_S8_bb, .Lfunc_end29-_ZN9rocsparseL35csrgemm_symbolic_fill_block_per_rowILj128ELj16ELj256ELj137ELj64EliEEvT5_PKS1_S3_PKT4_S3_S6_S3_S6_S3_S6_PS1_21rocsparse_index_base_S8_S8_S8_bb
                                        ; -- End function
	.set _ZN9rocsparseL35csrgemm_symbolic_fill_block_per_rowILj128ELj16ELj256ELj137ELj64EliEEvT5_PKS1_S3_PKT4_S3_S6_S3_S6_S3_S6_PS1_21rocsparse_index_base_S8_S8_S8_bb.num_vgpr, 16
	.set _ZN9rocsparseL35csrgemm_symbolic_fill_block_per_rowILj128ELj16ELj256ELj137ELj64EliEEvT5_PKS1_S3_PKT4_S3_S6_S3_S6_S3_S6_PS1_21rocsparse_index_base_S8_S8_S8_bb.num_agpr, 0
	.set _ZN9rocsparseL35csrgemm_symbolic_fill_block_per_rowILj128ELj16ELj256ELj137ELj64EliEEvT5_PKS1_S3_PKT4_S3_S6_S3_S6_S3_S6_PS1_21rocsparse_index_base_S8_S8_S8_bb.numbered_sgpr, 35
	.set _ZN9rocsparseL35csrgemm_symbolic_fill_block_per_rowILj128ELj16ELj256ELj137ELj64EliEEvT5_PKS1_S3_PKT4_S3_S6_S3_S6_S3_S6_PS1_21rocsparse_index_base_S8_S8_S8_bb.num_named_barrier, 0
	.set _ZN9rocsparseL35csrgemm_symbolic_fill_block_per_rowILj128ELj16ELj256ELj137ELj64EliEEvT5_PKS1_S3_PKT4_S3_S6_S3_S6_S3_S6_PS1_21rocsparse_index_base_S8_S8_S8_bb.private_seg_size, 0
	.set _ZN9rocsparseL35csrgemm_symbolic_fill_block_per_rowILj128ELj16ELj256ELj137ELj64EliEEvT5_PKS1_S3_PKT4_S3_S6_S3_S6_S3_S6_PS1_21rocsparse_index_base_S8_S8_S8_bb.uses_vcc, 1
	.set _ZN9rocsparseL35csrgemm_symbolic_fill_block_per_rowILj128ELj16ELj256ELj137ELj64EliEEvT5_PKS1_S3_PKT4_S3_S6_S3_S6_S3_S6_PS1_21rocsparse_index_base_S8_S8_S8_bb.uses_flat_scratch, 0
	.set _ZN9rocsparseL35csrgemm_symbolic_fill_block_per_rowILj128ELj16ELj256ELj137ELj64EliEEvT5_PKS1_S3_PKT4_S3_S6_S3_S6_S3_S6_PS1_21rocsparse_index_base_S8_S8_S8_bb.has_dyn_sized_stack, 0
	.set _ZN9rocsparseL35csrgemm_symbolic_fill_block_per_rowILj128ELj16ELj256ELj137ELj64EliEEvT5_PKS1_S3_PKT4_S3_S6_S3_S6_S3_S6_PS1_21rocsparse_index_base_S8_S8_S8_bb.has_recursion, 0
	.set _ZN9rocsparseL35csrgemm_symbolic_fill_block_per_rowILj128ELj16ELj256ELj137ELj64EliEEvT5_PKS1_S3_PKT4_S3_S6_S3_S6_S3_S6_PS1_21rocsparse_index_base_S8_S8_S8_bb.has_indirect_call, 0
	.section	.AMDGPU.csdata,"",@progbits
; Kernel info:
; codeLenInByte = 2220
; TotalNumSgprs: 37
; NumVgprs: 16
; ScratchSize: 0
; MemoryBound: 0
; FloatMode: 240
; IeeeMode: 1
; LDSByteSize: 0 bytes/workgroup (compile time only)
; SGPRBlocks: 0
; VGPRBlocks: 1
; NumSGPRsForWavesPerEU: 37
; NumVGPRsForWavesPerEU: 16
; Occupancy: 16
; WaveLimiterHint : 1
; COMPUTE_PGM_RSRC2:SCRATCH_EN: 0
; COMPUTE_PGM_RSRC2:USER_SGPR: 6
; COMPUTE_PGM_RSRC2:TRAP_HANDLER: 0
; COMPUTE_PGM_RSRC2:TGID_X_EN: 1
; COMPUTE_PGM_RSRC2:TGID_Y_EN: 0
; COMPUTE_PGM_RSRC2:TGID_Z_EN: 0
; COMPUTE_PGM_RSRC2:TIDIG_COMP_CNT: 0
	.section	.text._ZN9rocsparseL35csrgemm_symbolic_fill_block_per_rowILj256ELj32ELj512ELj137ELj32EliEEvT5_PKS1_S3_PKT4_S3_S6_S3_S6_S3_S6_PS1_21rocsparse_index_base_S8_S8_S8_bb,"axG",@progbits,_ZN9rocsparseL35csrgemm_symbolic_fill_block_per_rowILj256ELj32ELj512ELj137ELj32EliEEvT5_PKS1_S3_PKT4_S3_S6_S3_S6_S3_S6_PS1_21rocsparse_index_base_S8_S8_S8_bb,comdat
	.globl	_ZN9rocsparseL35csrgemm_symbolic_fill_block_per_rowILj256ELj32ELj512ELj137ELj32EliEEvT5_PKS1_S3_PKT4_S3_S6_S3_S6_S3_S6_PS1_21rocsparse_index_base_S8_S8_S8_bb ; -- Begin function _ZN9rocsparseL35csrgemm_symbolic_fill_block_per_rowILj256ELj32ELj512ELj137ELj32EliEEvT5_PKS1_S3_PKT4_S3_S6_S3_S6_S3_S6_PS1_21rocsparse_index_base_S8_S8_S8_bb
	.p2align	8
	.type	_ZN9rocsparseL35csrgemm_symbolic_fill_block_per_rowILj256ELj32ELj512ELj137ELj32EliEEvT5_PKS1_S3_PKT4_S3_S6_S3_S6_S3_S6_PS1_21rocsparse_index_base_S8_S8_S8_bb,@function
_ZN9rocsparseL35csrgemm_symbolic_fill_block_per_rowILj256ELj32ELj512ELj137ELj32EliEEvT5_PKS1_S3_PKT4_S3_S6_S3_S6_S3_S6_PS1_21rocsparse_index_base_S8_S8_S8_bb: ; @_ZN9rocsparseL35csrgemm_symbolic_fill_block_per_rowILj256ELj32ELj512ELj137ELj32EliEEvT5_PKS1_S3_PKT4_S3_S6_S3_S6_S3_S6_PS1_21rocsparse_index_base_S8_S8_S8_bb
; %bb.0:
	s_clause 0x3
	s_load_dwordx4 s[24:27], s[4:5], 0x48
	s_load_dwordx8 s[8:15], s[4:5], 0x28
	s_load_dword s30, s[4:5], 0x0
	s_load_dwordx8 s[16:23], s[4:5], 0x8
	v_cmp_gt_u32_e64 s0, 0x200, v0
	v_or_b32_e32 v7, 0xffffff00, v0
	v_lshl_add_u32 v8, v0, 2, 0
	s_and_saveexec_b32 s1, s0
	s_cbranch_execz .LBB30_3
; %bb.1:
	v_or_b32_e32 v1, 0xffffff00, v0
	v_lshl_add_u32 v2, v0, 2, 0
	s_waitcnt lgkmcnt(0)
	v_mov_b32_e32 v3, s30
	s_mov_b32 s2, 0
.LBB30_2:                               ; =>This Inner Loop Header: Depth=1
	v_add_co_u32 v1, s3, 0x100, v1
	s_xor_b32 s3, s3, -1
	ds_write_b32 v2, v3
	v_add_nc_u32_e32 v2, 0x400, v2
	s_and_b32 s3, exec_lo, s3
	s_or_b32 s2, s3, s2
	s_andn2_b32 exec_lo, exec_lo, s2
	s_cbranch_execnz .LBB30_2
.LBB30_3:
	s_or_b32 exec_lo, exec_lo, s1
	s_load_dword s1, s[4:5], 0x68
	s_waitcnt lgkmcnt(0)
	s_barrier
	buffer_gl0_inv
	s_load_dword s2, s[16:17], 0x0
	s_mov_b32 s3, 0
	v_lshrrev_b32_e32 v9, 5, v0
	s_bitcmp1_b32 s1, 0
	s_cselect_b32 s7, -1, 0
	s_waitcnt lgkmcnt(0)
	s_add_i32 s2, s2, s6
	s_lshl_b64 s[2:3], s[2:3], 2
	s_add_u32 s2, s18, s2
	s_addc_u32 s3, s19, s3
	s_load_dwordx4 s[16:19], s[4:5], 0x58
	s_load_dword s28, s[2:3], 0x0
	s_and_b32 vcc_lo, exec_lo, s7
	s_cbranch_vccz .LBB30_19
; %bb.4:
	s_waitcnt lgkmcnt(0)
	s_ashr_i32 s29, s28, 31
	s_lshl_b64 s[2:3], s[28:29], 3
	s_add_u32 s2, s20, s2
	s_addc_u32 s3, s21, s3
	s_load_dwordx4 s[4:7], s[2:3], 0x0
	v_sub_co_u32 v1, s2, v9, s16
	v_sub_co_ci_u32_e64 v2, null, 0, 0, s2
	s_waitcnt lgkmcnt(0)
	v_add_co_u32 v1, vcc_lo, s4, v1
	v_add_co_ci_u32_e64 v2, null, s5, v2, vcc_lo
	s_sub_u32 s2, s6, s16
	s_subb_u32 s3, s7, 0
	s_mov_b32 s4, exec_lo
	v_cmpx_gt_i64_e64 s[2:3], v[1:2]
	s_cbranch_execz .LBB30_18
; %bb.5:
	v_and_b32_e32 v3, 31, v0
	s_mov_b32 s6, s17
	v_sub_co_u32 v10, s5, v3, s17
	v_sub_co_ci_u32_e64 v11, null, 0, 0, s5
	s_mov_b32 s5, 0
	s_branch .LBB30_7
.LBB30_6:                               ;   in Loop: Header=BB30_7 Depth=1
	s_or_b32 exec_lo, exec_lo, s7
	v_add_co_u32 v1, vcc_lo, v1, 8
	v_add_co_ci_u32_e64 v2, null, 0, v2, vcc_lo
	v_cmp_le_i64_e32 vcc_lo, s[2:3], v[1:2]
	s_or_b32 s5, vcc_lo, s5
	s_andn2_b32 exec_lo, exec_lo, s5
	s_cbranch_execz .LBB30_18
.LBB30_7:                               ; =>This Loop Header: Depth=1
                                        ;     Child Loop BB30_10 Depth 2
                                        ;       Child Loop BB30_13 Depth 3
	v_lshlrev_b64 v[3:4], 2, v[1:2]
	s_mov_b32 s7, exec_lo
	v_add_co_u32 v3, vcc_lo, s22, v3
	v_add_co_ci_u32_e64 v4, null, s23, v4, vcc_lo
	global_load_dword v3, v[3:4], off
	s_waitcnt vmcnt(0)
	v_subrev_nc_u32_e32 v3, s16, v3
	v_ashrrev_i32_e32 v4, 31, v3
	v_lshlrev_b64 v[3:4], 3, v[3:4]
	v_add_co_u32 v3, vcc_lo, s8, v3
	v_add_co_ci_u32_e64 v4, null, s9, v4, vcc_lo
	global_load_dwordx4 v[12:15], v[3:4], off
	s_waitcnt vmcnt(0)
	v_sub_co_u32 v3, vcc_lo, v14, s6
	v_subrev_co_ci_u32_e64 v4, null, 0, v15, vcc_lo
	v_add_co_u32 v5, vcc_lo, v12, v10
	v_add_co_ci_u32_e64 v6, null, v13, v11, vcc_lo
	v_cmpx_lt_i64_e64 v[5:6], v[3:4]
	s_cbranch_execz .LBB30_6
; %bb.8:                                ;   in Loop: Header=BB30_7 Depth=1
	s_mov_b32 s20, 0
	s_branch .LBB30_10
.LBB30_9:                               ;   in Loop: Header=BB30_10 Depth=2
	s_inst_prefetch 0x2
	s_or_b32 exec_lo, exec_lo, s21
	v_add_co_u32 v5, vcc_lo, v5, 32
	v_add_co_ci_u32_e64 v6, null, 0, v6, vcc_lo
	v_cmp_ge_i64_e32 vcc_lo, v[5:6], v[3:4]
	s_or_b32 s20, vcc_lo, s20
	s_andn2_b32 exec_lo, exec_lo, s20
	s_cbranch_execz .LBB30_6
.LBB30_10:                              ;   Parent Loop BB30_7 Depth=1
                                        ; =>  This Loop Header: Depth=2
                                        ;       Child Loop BB30_13 Depth 3
	v_lshlrev_b64 v[12:13], 2, v[5:6]
	s_mov_b32 s21, 0
                                        ; implicit-def: $sgpr29
	v_add_co_u32 v12, vcc_lo, s10, v12
	v_add_co_ci_u32_e64 v13, null, s11, v13, vcc_lo
	global_load_dword v12, v[12:13], off
	s_waitcnt vmcnt(0)
	v_subrev_nc_u32_e32 v12, s17, v12
	v_mul_lo_u32 v13, 0x89, v12
	v_and_b32_e32 v13, 0x1ff, v13
	s_inst_prefetch 0x1
	s_branch .LBB30_13
	.p2align	6
.LBB30_11:                              ;   in Loop: Header=BB30_13 Depth=3
	s_or_b32 exec_lo, exec_lo, s33
	s_andn2_b32 s29, s29, exec_lo
	s_and_b32 s33, s34, exec_lo
	s_or_b32 s29, s29, s33
.LBB30_12:                              ;   in Loop: Header=BB30_13 Depth=3
	s_or_b32 exec_lo, exec_lo, s31
	s_xor_b32 s31, s29, -1
	s_and_b32 s31, exec_lo, s31
	s_or_b32 s21, s31, s21
	s_andn2_b32 exec_lo, exec_lo, s21
	s_cbranch_execz .LBB30_9
.LBB30_13:                              ;   Parent Loop BB30_7 Depth=1
                                        ;     Parent Loop BB30_10 Depth=2
                                        ; =>    This Inner Loop Header: Depth=3
	v_lshl_add_u32 v14, v13, 2, 0
	s_andn2_b32 s29, s29, exec_lo
	s_mov_b32 s31, exec_lo
	ds_read_b32 v15, v14
	s_waitcnt lgkmcnt(0)
	v_cmpx_ne_u32_e64 v15, v12
	s_cbranch_execz .LBB30_12
; %bb.14:                               ;   in Loop: Header=BB30_13 Depth=3
	s_mov_b32 s33, exec_lo
	v_cmpx_ne_u32_e64 s30, v15
	s_xor_b32 s33, exec_lo, s33
; %bb.15:                               ;   in Loop: Header=BB30_13 Depth=3
	v_add_nc_u32_e32 v13, 1, v13
                                        ; implicit-def: $vgpr14
	v_and_b32_e32 v13, 0x1ff, v13
; %bb.16:                               ;   in Loop: Header=BB30_13 Depth=3
	s_or_saveexec_b32 s33, s33
	s_mov_b32 s34, -1
	s_xor_b32 exec_lo, exec_lo, s33
	s_cbranch_execz .LBB30_11
; %bb.17:                               ;   in Loop: Header=BB30_13 Depth=3
	v_mov_b32_e32 v15, s30
	ds_cmpst_rtn_b32 v14, v14, v15, v12
	s_waitcnt lgkmcnt(0)
	v_cmp_ne_u32_e32 vcc_lo, s30, v14
	s_orn2_b32 s34, vcc_lo, exec_lo
	s_branch .LBB30_11
.LBB30_18:
	s_or_b32 exec_lo, exec_lo, s4
.LBB30_19:
	s_bfe_u32 s1, s1, 0x10008
	s_cmp_eq_u32 s1, 0
	s_cbranch_scc1 .LBB30_22
; %bb.20:
	s_waitcnt lgkmcnt(0)
	s_ashr_i32 s29, s28, 31
	v_sub_co_u32 v1, s1, v0, s19
	s_lshl_b64 s[2:3], s[28:29], 3
	v_sub_co_ci_u32_e64 v2, null, 0, 0, s1
	s_add_u32 s2, s12, s2
	s_addc_u32 s3, s13, s3
	s_mov_b32 s1, exec_lo
	s_load_dwordx4 s[4:7], s[2:3], 0x0
	s_waitcnt lgkmcnt(0)
	v_add_co_u32 v1, vcc_lo, s4, v1
	v_add_co_ci_u32_e64 v2, null, s5, v2, vcc_lo
	s_sub_u32 s2, s6, s19
	s_subb_u32 s3, s7, 0
	s_mov_b32 s4, 0
	v_cmpx_gt_i64_e64 s[2:3], v[1:2]
	s_cbranch_execnz .LBB30_44
.LBB30_21:
	s_or_b32 exec_lo, exec_lo, s1
.LBB30_22:
	s_waitcnt lgkmcnt(0)
	s_barrier
	buffer_gl0_inv
	s_and_saveexec_b32 s8, s0
	s_cbranch_execz .LBB30_52
; %bb.23:
	v_mbcnt_lo_u32_b32 v3, -1, 0
	v_mov_b32_e32 v1, 0
	v_lshl_add_u32 v2, v9, 2, 0
	v_cmp_lt_u32_e64 s0, 31, v0
	v_cmp_lt_u32_e64 s1, 63, v0
	v_xor_b32_e32 v3, 31, v3
	v_cmp_lt_u32_e64 s2, 0x5f, v0
	v_cmp_lt_u32_e64 s3, 0x7f, v0
	;; [unrolled: 1-line block ×4, first 2 shown]
	v_lshrrev_b32_e64 v3, v3, -1
	v_cmp_lt_u32_e64 s6, 0xdf, v0
	v_mov_b32_e32 v4, 0
	s_mov_b32 s9, 0
	v_cmp_eq_u32_e32 vcc_lo, 0xff, v0
	s_branch .LBB30_25
.LBB30_24:                              ;   in Loop: Header=BB30_25 Depth=1
	s_or_b32 exec_lo, exec_lo, s7
	s_waitcnt lgkmcnt(0)
	s_barrier
	buffer_gl0_inv
	ds_read_b32 v5, v1 offset:2076
	v_add_co_u32 v7, s7, 0x100, v7
	s_xor_b32 s7, s7, -1
	v_add_nc_u32_e32 v8, 0x400, v8
	s_and_b32 s7, exec_lo, s7
	s_or_b32 s9, s7, s9
	s_waitcnt lgkmcnt(0)
	v_add_nc_u32_e32 v4, v5, v4
	s_andn2_b32 exec_lo, exec_lo, s9
	s_cbranch_execz .LBB30_52
.LBB30_25:                              ; =>This Inner Loop Header: Depth=1
	ds_read_b32 v5, v8
	s_waitcnt lgkmcnt(0)
	s_barrier
	buffer_gl0_inv
	v_cmp_gt_i32_e64 s7, s30, v5
	v_and_b32_e32 v6, s7, v3
	s_bcnt1_i32_b32 s10, s7
	v_mov_b32_e32 v9, s10
	v_bcnt_u32_b32 v6, v6, 0
	ds_write_b32 v2, v9 offset:2048
	s_waitcnt lgkmcnt(0)
	s_barrier
	buffer_gl0_inv
	s_and_saveexec_b32 s10, s0
	s_cbranch_execnz .LBB30_34
; %bb.26:                               ;   in Loop: Header=BB30_25 Depth=1
	s_or_b32 exec_lo, exec_lo, s10
	s_and_saveexec_b32 s10, s1
	s_cbranch_execnz .LBB30_35
.LBB30_27:                              ;   in Loop: Header=BB30_25 Depth=1
	s_or_b32 exec_lo, exec_lo, s10
	s_and_saveexec_b32 s10, s2
	s_cbranch_execnz .LBB30_36
.LBB30_28:                              ;   in Loop: Header=BB30_25 Depth=1
	s_or_b32 exec_lo, exec_lo, s10
	s_and_saveexec_b32 s10, s3
	s_cbranch_execnz .LBB30_37
.LBB30_29:                              ;   in Loop: Header=BB30_25 Depth=1
	s_or_b32 exec_lo, exec_lo, s10
	s_and_saveexec_b32 s10, s4
	s_cbranch_execnz .LBB30_38
.LBB30_30:                              ;   in Loop: Header=BB30_25 Depth=1
	s_or_b32 exec_lo, exec_lo, s10
	s_and_saveexec_b32 s10, s5
	s_cbranch_execnz .LBB30_39
.LBB30_31:                              ;   in Loop: Header=BB30_25 Depth=1
	s_or_b32 exec_lo, exec_lo, s10
	s_and_saveexec_b32 s10, s6
	s_cbranch_execnz .LBB30_40
.LBB30_32:                              ;   in Loop: Header=BB30_25 Depth=1
	s_or_b32 exec_lo, exec_lo, s10
	s_and_saveexec_b32 s10, s7
	s_cbranch_execnz .LBB30_41
.LBB30_33:                              ;   in Loop: Header=BB30_25 Depth=1
	s_or_b32 exec_lo, exec_lo, s10
	s_and_saveexec_b32 s7, vcc_lo
	s_cbranch_execz .LBB30_24
	s_branch .LBB30_42
.LBB30_34:                              ;   in Loop: Header=BB30_25 Depth=1
	ds_read_b32 v9, v1 offset:2048
	s_waitcnt lgkmcnt(0)
	v_add_nc_u32_e32 v6, v9, v6
	s_or_b32 exec_lo, exec_lo, s10
	s_and_saveexec_b32 s10, s1
	s_cbranch_execz .LBB30_27
.LBB30_35:                              ;   in Loop: Header=BB30_25 Depth=1
	ds_read_b32 v9, v1 offset:2052
	s_waitcnt lgkmcnt(0)
	v_add_nc_u32_e32 v6, v9, v6
	s_or_b32 exec_lo, exec_lo, s10
	s_and_saveexec_b32 s10, s2
	s_cbranch_execz .LBB30_28
.LBB30_36:                              ;   in Loop: Header=BB30_25 Depth=1
	ds_read_b32 v9, v1 offset:2056
	s_waitcnt lgkmcnt(0)
	v_add_nc_u32_e32 v6, v9, v6
	s_or_b32 exec_lo, exec_lo, s10
	s_and_saveexec_b32 s10, s3
	s_cbranch_execz .LBB30_29
.LBB30_37:                              ;   in Loop: Header=BB30_25 Depth=1
	ds_read_b32 v9, v1 offset:2060
	s_waitcnt lgkmcnt(0)
	v_add_nc_u32_e32 v6, v9, v6
	s_or_b32 exec_lo, exec_lo, s10
	s_and_saveexec_b32 s10, s4
	s_cbranch_execz .LBB30_30
.LBB30_38:                              ;   in Loop: Header=BB30_25 Depth=1
	ds_read_b32 v9, v1 offset:2064
	s_waitcnt lgkmcnt(0)
	v_add_nc_u32_e32 v6, v9, v6
	s_or_b32 exec_lo, exec_lo, s10
	s_and_saveexec_b32 s10, s5
	s_cbranch_execz .LBB30_31
.LBB30_39:                              ;   in Loop: Header=BB30_25 Depth=1
	ds_read_b32 v9, v1 offset:2068
	s_waitcnt lgkmcnt(0)
	v_add_nc_u32_e32 v6, v9, v6
	s_or_b32 exec_lo, exec_lo, s10
	s_and_saveexec_b32 s10, s6
	s_cbranch_execz .LBB30_32
.LBB30_40:                              ;   in Loop: Header=BB30_25 Depth=1
	ds_read_b32 v9, v1 offset:2072
	s_waitcnt lgkmcnt(0)
	v_add_nc_u32_e32 v6, v9, v6
	s_or_b32 exec_lo, exec_lo, s10
	s_and_saveexec_b32 s10, s7
	s_cbranch_execz .LBB30_33
.LBB30_41:                              ;   in Loop: Header=BB30_25 Depth=1
	v_lshlrev_b32_e32 v9, 2, v4
	v_lshlrev_b32_e32 v10, 2, v6
	v_add_nc_u32_e32 v9, 0, v9
	v_add3_u32 v9, v9, v10, -4
	ds_write_b32 v9, v5
	s_or_b32 exec_lo, exec_lo, s10
	s_and_saveexec_b32 s7, vcc_lo
	s_cbranch_execz .LBB30_24
.LBB30_42:                              ;   in Loop: Header=BB30_25 Depth=1
	ds_write_b32 v1, v6 offset:2076
	s_branch .LBB30_24
.LBB30_43:                              ;   in Loop: Header=BB30_44 Depth=1
	s_inst_prefetch 0x2
	s_or_b32 exec_lo, exec_lo, s5
	v_add_co_u32 v1, vcc_lo, 0x100, v1
	v_add_co_ci_u32_e64 v2, null, 0, v2, vcc_lo
	v_cmp_le_i64_e32 vcc_lo, s[2:3], v[1:2]
	s_or_b32 s4, vcc_lo, s4
	s_andn2_b32 exec_lo, exec_lo, s4
	s_cbranch_execz .LBB30_21
.LBB30_44:                              ; =>This Loop Header: Depth=1
                                        ;     Child Loop BB30_47 Depth 2
	v_lshlrev_b64 v[3:4], 2, v[1:2]
	s_mov_b32 s5, 0
                                        ; implicit-def: $sgpr6
	v_add_co_u32 v3, vcc_lo, s14, v3
	v_add_co_ci_u32_e64 v4, null, s15, v4, vcc_lo
	global_load_dword v3, v[3:4], off
	s_waitcnt vmcnt(0)
	v_subrev_nc_u32_e32 v3, s19, v3
	v_mul_lo_u32 v4, 0x89, v3
	v_and_b32_e32 v4, 0x1ff, v4
	s_inst_prefetch 0x1
	s_branch .LBB30_47
	.p2align	6
.LBB30_45:                              ;   in Loop: Header=BB30_47 Depth=2
	s_or_b32 exec_lo, exec_lo, s8
	s_andn2_b32 s6, s6, exec_lo
	s_and_b32 s8, s9, exec_lo
	s_or_b32 s6, s6, s8
.LBB30_46:                              ;   in Loop: Header=BB30_47 Depth=2
	s_or_b32 exec_lo, exec_lo, s7
	s_xor_b32 s7, s6, -1
	s_and_b32 s7, exec_lo, s7
	s_or_b32 s5, s7, s5
	s_andn2_b32 exec_lo, exec_lo, s5
	s_cbranch_execz .LBB30_43
.LBB30_47:                              ;   Parent Loop BB30_44 Depth=1
                                        ; =>  This Inner Loop Header: Depth=2
	v_lshl_add_u32 v5, v4, 2, 0
	s_andn2_b32 s6, s6, exec_lo
	s_mov_b32 s7, exec_lo
	ds_read_b32 v6, v5
	s_waitcnt lgkmcnt(0)
	v_cmpx_ne_u32_e64 v6, v3
	s_cbranch_execz .LBB30_46
; %bb.48:                               ;   in Loop: Header=BB30_47 Depth=2
	s_mov_b32 s8, exec_lo
	v_cmpx_ne_u32_e64 s30, v6
	s_xor_b32 s8, exec_lo, s8
; %bb.49:                               ;   in Loop: Header=BB30_47 Depth=2
	v_add_nc_u32_e32 v4, 1, v4
                                        ; implicit-def: $vgpr5
	v_and_b32_e32 v4, 0x1ff, v4
; %bb.50:                               ;   in Loop: Header=BB30_47 Depth=2
	s_or_saveexec_b32 s8, s8
	s_mov_b32 s9, -1
	s_xor_b32 exec_lo, exec_lo, s8
	s_cbranch_execz .LBB30_45
; %bb.51:                               ;   in Loop: Header=BB30_47 Depth=2
	v_mov_b32_e32 v6, s30
	ds_cmpst_rtn_b32 v5, v5, v6, v3
	s_waitcnt lgkmcnt(0)
	v_cmp_ne_u32_e32 vcc_lo, s30, v5
	s_orn2_b32 s9, vcc_lo, exec_lo
	s_branch .LBB30_45
.LBB30_52:
	s_or_b32 exec_lo, exec_lo, s8
	s_ashr_i32 s29, s28, 31
	s_mov_b32 s4, exec_lo
	s_lshl_b64 s[0:1], s[28:29], 3
	s_add_u32 s0, s24, s0
	s_addc_u32 s1, s25, s1
	s_load_dwordx4 s[0:3], s[0:1], 0x0
	s_waitcnt lgkmcnt(0)
	s_sub_i32 s3, s2, s0
	v_cmpx_gt_i32_e64 s3, v0
	s_cbranch_execz .LBB30_62
; %bb.53:
	s_sub_u32 s4, s0, s18
	s_subb_u32 s5, s1, 0
	s_sub_i32 s0, s0, s2
	s_and_b32 s1, s3, 7
	s_cmp_lt_u32 s0, -7
	s_mov_b32 s8, 0
	s_cselect_b32 s2, -1, 0
	s_and_b32 s6, s3, -8
	s_cmp_lg_u32 s1, 0
	s_cselect_b32 s7, -1, 0
	s_branch .LBB30_55
.LBB30_54:                              ;   in Loop: Header=BB30_55 Depth=1
	v_lshlrev_b64 v[1:2], 2, v[1:2]
	v_add_nc_u32_e32 v0, 0x100, v0
	s_waitcnt lgkmcnt(0)
	v_add_nc_u32_e32 v3, s18, v3
	v_cmp_le_i32_e32 vcc_lo, s3, v0
	v_add_co_u32 v1, s0, s26, v1
	v_add_co_ci_u32_e64 v2, null, s27, v2, s0
	s_or_b32 s8, vcc_lo, s8
	global_store_dword v[1:2], v3, off
	s_andn2_b32 exec_lo, exec_lo, s8
	s_cbranch_execz .LBB30_62
.LBB30_55:                              ; =>This Loop Header: Depth=1
                                        ;     Child Loop BB30_57 Depth 2
                                        ;     Child Loop BB30_61 Depth 2
	v_lshl_add_u32 v1, v0, 2, 0
	s_andn2_b32 vcc_lo, exec_lo, s2
	s_mov_b32 s0, 0
	ds_read_b32 v3, v1
	v_mov_b32_e32 v1, s4
	v_mov_b32_e32 v2, s5
	s_cbranch_vccnz .LBB30_59
; %bb.56:                               ;   in Loop: Header=BB30_55 Depth=1
	v_mov_b32_e32 v1, s4
	v_mov_b32_e32 v2, s5
	s_mov_b32 s9, 0
	s_mov_b32 s10, 0
.LBB30_57:                              ;   Parent Loop BB30_55 Depth=1
                                        ; =>  This Inner Loop Header: Depth=2
	v_mov_b32_e32 v10, s10
	s_add_i32 s9, s9, 8
	s_add_i32 s10, s10, 32
	s_cmp_eq_u32 s6, s9
	ds_read2_b32 v[4:5], v10 offset1:1
	ds_read2_b32 v[6:7], v10 offset0:2 offset1:3
	ds_read2_b32 v[8:9], v10 offset0:4 offset1:5
	;; [unrolled: 1-line block ×3, first 2 shown]
	s_waitcnt lgkmcnt(3)
	v_cmp_gt_i32_e32 vcc_lo, v3, v4
	v_cndmask_b32_e64 v4, 0, 1, vcc_lo
	v_cmp_gt_i32_e32 vcc_lo, v3, v5
	v_cndmask_b32_e64 v5, 0, 1, vcc_lo
	s_waitcnt lgkmcnt(2)
	v_cmp_gt_i32_e32 vcc_lo, v3, v6
	v_cndmask_b32_e64 v6, 0, 1, vcc_lo
	v_cmp_gt_i32_e32 vcc_lo, v3, v7
	v_cndmask_b32_e64 v7, 0, 1, vcc_lo
	s_waitcnt lgkmcnt(1)
	v_cmp_gt_i32_e32 vcc_lo, v3, v8
	v_cndmask_b32_e64 v8, 0, 1, vcc_lo
	v_add_co_u32 v1, vcc_lo, v1, v4
	v_add_co_ci_u32_e64 v2, null, 0, v2, vcc_lo
	v_cmp_gt_i32_e32 vcc_lo, v3, v9
	v_add_co_u32 v1, s0, v1, v5
	v_add_co_ci_u32_e64 v2, null, 0, v2, s0
	v_cndmask_b32_e64 v4, 0, 1, vcc_lo
	v_add_co_u32 v1, vcc_lo, v1, v6
	v_add_co_ci_u32_e64 v2, null, 0, v2, vcc_lo
	s_waitcnt lgkmcnt(0)
	v_cmp_gt_i32_e32 vcc_lo, v3, v10
	v_add_co_u32 v1, s0, v1, v7
	v_add_co_ci_u32_e64 v2, null, 0, v2, s0
	v_cndmask_b32_e64 v5, 0, 1, vcc_lo
	v_add_co_u32 v1, vcc_lo, v1, v8
	v_add_co_ci_u32_e64 v2, null, 0, v2, vcc_lo
	v_cmp_gt_i32_e32 vcc_lo, v3, v11
	v_add_co_u32 v1, s0, v1, v4
	v_add_co_ci_u32_e64 v2, null, 0, v2, s0
	v_cndmask_b32_e64 v4, 0, 1, vcc_lo
	v_add_co_u32 v1, vcc_lo, v1, v5
	v_add_co_ci_u32_e64 v2, null, 0, v2, vcc_lo
	v_add_co_u32 v1, vcc_lo, v1, v4
	v_add_co_ci_u32_e64 v2, null, 0, v2, vcc_lo
	s_cbranch_scc0 .LBB30_57
; %bb.58:                               ;   in Loop: Header=BB30_55 Depth=1
	s_mov_b32 s0, s6
.LBB30_59:                              ;   in Loop: Header=BB30_55 Depth=1
	s_andn2_b32 vcc_lo, exec_lo, s7
	s_cbranch_vccnz .LBB30_54
; %bb.60:                               ;   in Loop: Header=BB30_55 Depth=1
	s_lshl_b32 s0, s0, 2
	s_mov_b32 s9, s1
	s_add_i32 s0, s0, 0
.LBB30_61:                              ;   Parent Loop BB30_55 Depth=1
                                        ; =>  This Inner Loop Header: Depth=2
	v_mov_b32_e32 v4, s0
	s_add_i32 s9, s9, -1
	s_add_i32 s0, s0, 4
	s_cmp_lg_u32 s9, 0
	ds_read_b32 v4, v4
	s_waitcnt lgkmcnt(0)
	v_cmp_gt_i32_e32 vcc_lo, v3, v4
	v_cndmask_b32_e64 v4, 0, 1, vcc_lo
	v_add_co_u32 v1, vcc_lo, v1, v4
	v_add_co_ci_u32_e64 v2, null, 0, v2, vcc_lo
	s_cbranch_scc1 .LBB30_61
	s_branch .LBB30_54
.LBB30_62:
	s_endpgm
	.section	.rodata,"a",@progbits
	.p2align	6, 0x0
	.amdhsa_kernel _ZN9rocsparseL35csrgemm_symbolic_fill_block_per_rowILj256ELj32ELj512ELj137ELj32EliEEvT5_PKS1_S3_PKT4_S3_S6_S3_S6_S3_S6_PS1_21rocsparse_index_base_S8_S8_S8_bb
		.amdhsa_group_segment_fixed_size 0
		.amdhsa_private_segment_fixed_size 0
		.amdhsa_kernarg_size 108
		.amdhsa_user_sgpr_count 6
		.amdhsa_user_sgpr_private_segment_buffer 1
		.amdhsa_user_sgpr_dispatch_ptr 0
		.amdhsa_user_sgpr_queue_ptr 0
		.amdhsa_user_sgpr_kernarg_segment_ptr 1
		.amdhsa_user_sgpr_dispatch_id 0
		.amdhsa_user_sgpr_flat_scratch_init 0
		.amdhsa_user_sgpr_private_segment_size 0
		.amdhsa_wavefront_size32 1
		.amdhsa_uses_dynamic_stack 0
		.amdhsa_system_sgpr_private_segment_wavefront_offset 0
		.amdhsa_system_sgpr_workgroup_id_x 1
		.amdhsa_system_sgpr_workgroup_id_y 0
		.amdhsa_system_sgpr_workgroup_id_z 0
		.amdhsa_system_sgpr_workgroup_info 0
		.amdhsa_system_vgpr_workitem_id 0
		.amdhsa_next_free_vgpr 16
		.amdhsa_next_free_sgpr 35
		.amdhsa_reserve_vcc 1
		.amdhsa_reserve_flat_scratch 0
		.amdhsa_float_round_mode_32 0
		.amdhsa_float_round_mode_16_64 0
		.amdhsa_float_denorm_mode_32 3
		.amdhsa_float_denorm_mode_16_64 3
		.amdhsa_dx10_clamp 1
		.amdhsa_ieee_mode 1
		.amdhsa_fp16_overflow 0
		.amdhsa_workgroup_processor_mode 1
		.amdhsa_memory_ordered 1
		.amdhsa_forward_progress 1
		.amdhsa_shared_vgpr_count 0
		.amdhsa_exception_fp_ieee_invalid_op 0
		.amdhsa_exception_fp_denorm_src 0
		.amdhsa_exception_fp_ieee_div_zero 0
		.amdhsa_exception_fp_ieee_overflow 0
		.amdhsa_exception_fp_ieee_underflow 0
		.amdhsa_exception_fp_ieee_inexact 0
		.amdhsa_exception_int_div_zero 0
	.end_amdhsa_kernel
	.section	.text._ZN9rocsparseL35csrgemm_symbolic_fill_block_per_rowILj256ELj32ELj512ELj137ELj32EliEEvT5_PKS1_S3_PKT4_S3_S6_S3_S6_S3_S6_PS1_21rocsparse_index_base_S8_S8_S8_bb,"axG",@progbits,_ZN9rocsparseL35csrgemm_symbolic_fill_block_per_rowILj256ELj32ELj512ELj137ELj32EliEEvT5_PKS1_S3_PKT4_S3_S6_S3_S6_S3_S6_PS1_21rocsparse_index_base_S8_S8_S8_bb,comdat
.Lfunc_end30:
	.size	_ZN9rocsparseL35csrgemm_symbolic_fill_block_per_rowILj256ELj32ELj512ELj137ELj32EliEEvT5_PKS1_S3_PKT4_S3_S6_S3_S6_S3_S6_PS1_21rocsparse_index_base_S8_S8_S8_bb, .Lfunc_end30-_ZN9rocsparseL35csrgemm_symbolic_fill_block_per_rowILj256ELj32ELj512ELj137ELj32EliEEvT5_PKS1_S3_PKT4_S3_S6_S3_S6_S3_S6_PS1_21rocsparse_index_base_S8_S8_S8_bb
                                        ; -- End function
	.set _ZN9rocsparseL35csrgemm_symbolic_fill_block_per_rowILj256ELj32ELj512ELj137ELj32EliEEvT5_PKS1_S3_PKT4_S3_S6_S3_S6_S3_S6_PS1_21rocsparse_index_base_S8_S8_S8_bb.num_vgpr, 16
	.set _ZN9rocsparseL35csrgemm_symbolic_fill_block_per_rowILj256ELj32ELj512ELj137ELj32EliEEvT5_PKS1_S3_PKT4_S3_S6_S3_S6_S3_S6_PS1_21rocsparse_index_base_S8_S8_S8_bb.num_agpr, 0
	.set _ZN9rocsparseL35csrgemm_symbolic_fill_block_per_rowILj256ELj32ELj512ELj137ELj32EliEEvT5_PKS1_S3_PKT4_S3_S6_S3_S6_S3_S6_PS1_21rocsparse_index_base_S8_S8_S8_bb.numbered_sgpr, 35
	.set _ZN9rocsparseL35csrgemm_symbolic_fill_block_per_rowILj256ELj32ELj512ELj137ELj32EliEEvT5_PKS1_S3_PKT4_S3_S6_S3_S6_S3_S6_PS1_21rocsparse_index_base_S8_S8_S8_bb.num_named_barrier, 0
	.set _ZN9rocsparseL35csrgemm_symbolic_fill_block_per_rowILj256ELj32ELj512ELj137ELj32EliEEvT5_PKS1_S3_PKT4_S3_S6_S3_S6_S3_S6_PS1_21rocsparse_index_base_S8_S8_S8_bb.private_seg_size, 0
	.set _ZN9rocsparseL35csrgemm_symbolic_fill_block_per_rowILj256ELj32ELj512ELj137ELj32EliEEvT5_PKS1_S3_PKT4_S3_S6_S3_S6_S3_S6_PS1_21rocsparse_index_base_S8_S8_S8_bb.uses_vcc, 1
	.set _ZN9rocsparseL35csrgemm_symbolic_fill_block_per_rowILj256ELj32ELj512ELj137ELj32EliEEvT5_PKS1_S3_PKT4_S3_S6_S3_S6_S3_S6_PS1_21rocsparse_index_base_S8_S8_S8_bb.uses_flat_scratch, 0
	.set _ZN9rocsparseL35csrgemm_symbolic_fill_block_per_rowILj256ELj32ELj512ELj137ELj32EliEEvT5_PKS1_S3_PKT4_S3_S6_S3_S6_S3_S6_PS1_21rocsparse_index_base_S8_S8_S8_bb.has_dyn_sized_stack, 0
	.set _ZN9rocsparseL35csrgemm_symbolic_fill_block_per_rowILj256ELj32ELj512ELj137ELj32EliEEvT5_PKS1_S3_PKT4_S3_S6_S3_S6_S3_S6_PS1_21rocsparse_index_base_S8_S8_S8_bb.has_recursion, 0
	.set _ZN9rocsparseL35csrgemm_symbolic_fill_block_per_rowILj256ELj32ELj512ELj137ELj32EliEEvT5_PKS1_S3_PKT4_S3_S6_S3_S6_S3_S6_PS1_21rocsparse_index_base_S8_S8_S8_bb.has_indirect_call, 0
	.section	.AMDGPU.csdata,"",@progbits
; Kernel info:
; codeLenInByte = 2540
; TotalNumSgprs: 37
; NumVgprs: 16
; ScratchSize: 0
; MemoryBound: 0
; FloatMode: 240
; IeeeMode: 1
; LDSByteSize: 0 bytes/workgroup (compile time only)
; SGPRBlocks: 0
; VGPRBlocks: 1
; NumSGPRsForWavesPerEU: 37
; NumVGPRsForWavesPerEU: 16
; Occupancy: 16
; WaveLimiterHint : 1
; COMPUTE_PGM_RSRC2:SCRATCH_EN: 0
; COMPUTE_PGM_RSRC2:USER_SGPR: 6
; COMPUTE_PGM_RSRC2:TRAP_HANDLER: 0
; COMPUTE_PGM_RSRC2:TGID_X_EN: 1
; COMPUTE_PGM_RSRC2:TGID_Y_EN: 0
; COMPUTE_PGM_RSRC2:TGID_Z_EN: 0
; COMPUTE_PGM_RSRC2:TIDIG_COMP_CNT: 0
	.section	.text._ZN9rocsparseL35csrgemm_symbolic_fill_block_per_rowILj256ELj32ELj512ELj137ELj64EliEEvT5_PKS1_S3_PKT4_S3_S6_S3_S6_S3_S6_PS1_21rocsparse_index_base_S8_S8_S8_bb,"axG",@progbits,_ZN9rocsparseL35csrgemm_symbolic_fill_block_per_rowILj256ELj32ELj512ELj137ELj64EliEEvT5_PKS1_S3_PKT4_S3_S6_S3_S6_S3_S6_PS1_21rocsparse_index_base_S8_S8_S8_bb,comdat
	.globl	_ZN9rocsparseL35csrgemm_symbolic_fill_block_per_rowILj256ELj32ELj512ELj137ELj64EliEEvT5_PKS1_S3_PKT4_S3_S6_S3_S6_S3_S6_PS1_21rocsparse_index_base_S8_S8_S8_bb ; -- Begin function _ZN9rocsparseL35csrgemm_symbolic_fill_block_per_rowILj256ELj32ELj512ELj137ELj64EliEEvT5_PKS1_S3_PKT4_S3_S6_S3_S6_S3_S6_PS1_21rocsparse_index_base_S8_S8_S8_bb
	.p2align	8
	.type	_ZN9rocsparseL35csrgemm_symbolic_fill_block_per_rowILj256ELj32ELj512ELj137ELj64EliEEvT5_PKS1_S3_PKT4_S3_S6_S3_S6_S3_S6_PS1_21rocsparse_index_base_S8_S8_S8_bb,@function
_ZN9rocsparseL35csrgemm_symbolic_fill_block_per_rowILj256ELj32ELj512ELj137ELj64EliEEvT5_PKS1_S3_PKT4_S3_S6_S3_S6_S3_S6_PS1_21rocsparse_index_base_S8_S8_S8_bb: ; @_ZN9rocsparseL35csrgemm_symbolic_fill_block_per_rowILj256ELj32ELj512ELj137ELj64EliEEvT5_PKS1_S3_PKT4_S3_S6_S3_S6_S3_S6_PS1_21rocsparse_index_base_S8_S8_S8_bb
; %bb.0:
	s_clause 0x3
	s_load_dwordx4 s[24:27], s[4:5], 0x48
	s_load_dwordx8 s[8:15], s[4:5], 0x28
	s_load_dword s28, s[4:5], 0x0
	s_load_dwordx8 s[16:23], s[4:5], 0x8
	v_cmp_gt_u32_e64 s0, 0x200, v0
	v_or_b32_e32 v7, 0xffffff00, v0
	v_lshl_add_u32 v8, v0, 2, 0
	s_and_saveexec_b32 s1, s0
	s_cbranch_execz .LBB31_3
; %bb.1:
	v_or_b32_e32 v1, 0xffffff00, v0
	v_lshl_add_u32 v2, v0, 2, 0
	s_waitcnt lgkmcnt(0)
	v_mov_b32_e32 v3, s28
	s_mov_b32 s2, 0
.LBB31_2:                               ; =>This Inner Loop Header: Depth=1
	v_add_co_u32 v1, s3, 0x100, v1
	s_xor_b32 s3, s3, -1
	ds_write_b32 v2, v3
	v_add_nc_u32_e32 v2, 0x400, v2
	s_and_b32 s3, exec_lo, s3
	s_or_b32 s2, s3, s2
	s_andn2_b32 exec_lo, exec_lo, s2
	s_cbranch_execnz .LBB31_2
.LBB31_3:
	s_or_b32 exec_lo, exec_lo, s1
	s_load_dword s1, s[4:5], 0x68
	s_waitcnt lgkmcnt(0)
	s_barrier
	buffer_gl0_inv
	s_load_dword s2, s[16:17], 0x0
	s_mov_b32 s3, 0
	s_bitcmp1_b32 s1, 0
	s_cselect_b32 s17, -1, 0
	s_waitcnt lgkmcnt(0)
	s_add_i32 s2, s2, s6
	s_lshl_b64 s[2:3], s[2:3], 2
	s_add_u32 s2, s18, s2
	s_addc_u32 s3, s19, s3
	s_load_dwordx4 s[4:7], s[4:5], 0x58
	s_load_dword s16, s[2:3], 0x0
	s_and_b32 vcc_lo, exec_lo, s17
	s_cbranch_vccz .LBB31_19
; %bb.4:
	s_waitcnt lgkmcnt(0)
	s_ashr_i32 s17, s16, 31
	v_lshrrev_b32_e32 v1, 5, v0
	s_lshl_b64 s[2:3], s[16:17], 3
	s_mov_b32 s17, exec_lo
	s_add_u32 s2, s20, s2
	s_addc_u32 s3, s21, s3
	s_load_dwordx4 s[36:39], s[2:3], 0x0
	v_sub_co_u32 v1, s2, v1, s4
	v_sub_co_ci_u32_e64 v2, null, 0, 0, s2
	s_waitcnt lgkmcnt(0)
	v_add_co_u32 v1, vcc_lo, s36, v1
	v_add_co_ci_u32_e64 v2, null, s37, v2, vcc_lo
	s_sub_u32 s2, s38, s4
	s_subb_u32 s3, s39, 0
	v_cmpx_gt_i64_e64 s[2:3], v[1:2]
	s_cbranch_execz .LBB31_18
; %bb.5:
	v_and_b32_e32 v3, 31, v0
	s_mov_b32 s19, s5
	v_sub_co_u32 v9, s18, v3, s5
	v_sub_co_ci_u32_e64 v10, null, 0, 0, s18
	s_mov_b32 s18, 0
	s_branch .LBB31_7
.LBB31_6:                               ;   in Loop: Header=BB31_7 Depth=1
	s_or_b32 exec_lo, exec_lo, s20
	v_add_co_u32 v1, vcc_lo, v1, 8
	v_add_co_ci_u32_e64 v2, null, 0, v2, vcc_lo
	v_cmp_le_i64_e32 vcc_lo, s[2:3], v[1:2]
	s_or_b32 s18, vcc_lo, s18
	s_andn2_b32 exec_lo, exec_lo, s18
	s_cbranch_execz .LBB31_18
.LBB31_7:                               ; =>This Loop Header: Depth=1
                                        ;     Child Loop BB31_10 Depth 2
                                        ;       Child Loop BB31_13 Depth 3
	v_lshlrev_b64 v[3:4], 2, v[1:2]
	s_mov_b32 s20, exec_lo
	v_add_co_u32 v3, vcc_lo, s22, v3
	v_add_co_ci_u32_e64 v4, null, s23, v4, vcc_lo
	global_load_dword v3, v[3:4], off
	s_waitcnt vmcnt(0)
	v_subrev_nc_u32_e32 v3, s4, v3
	v_ashrrev_i32_e32 v4, 31, v3
	v_lshlrev_b64 v[3:4], 3, v[3:4]
	v_add_co_u32 v3, vcc_lo, s8, v3
	v_add_co_ci_u32_e64 v4, null, s9, v4, vcc_lo
	global_load_dwordx4 v[11:14], v[3:4], off
	s_waitcnt vmcnt(0)
	v_sub_co_u32 v3, vcc_lo, v13, s19
	v_subrev_co_ci_u32_e64 v4, null, 0, v14, vcc_lo
	v_add_co_u32 v5, vcc_lo, v11, v9
	v_add_co_ci_u32_e64 v6, null, v12, v10, vcc_lo
	v_cmpx_lt_i64_e64 v[5:6], v[3:4]
	s_cbranch_execz .LBB31_6
; %bb.8:                                ;   in Loop: Header=BB31_7 Depth=1
	s_mov_b32 s21, 0
	s_branch .LBB31_10
.LBB31_9:                               ;   in Loop: Header=BB31_10 Depth=2
	s_inst_prefetch 0x2
	s_or_b32 exec_lo, exec_lo, s29
	v_add_co_u32 v5, vcc_lo, v5, 32
	v_add_co_ci_u32_e64 v6, null, 0, v6, vcc_lo
	v_cmp_ge_i64_e32 vcc_lo, v[5:6], v[3:4]
	s_or_b32 s21, vcc_lo, s21
	s_andn2_b32 exec_lo, exec_lo, s21
	s_cbranch_execz .LBB31_6
.LBB31_10:                              ;   Parent Loop BB31_7 Depth=1
                                        ; =>  This Loop Header: Depth=2
                                        ;       Child Loop BB31_13 Depth 3
	v_lshlrev_b64 v[11:12], 2, v[5:6]
	s_mov_b32 s29, 0
                                        ; implicit-def: $sgpr30
	v_add_co_u32 v11, vcc_lo, s10, v11
	v_add_co_ci_u32_e64 v12, null, s11, v12, vcc_lo
	global_load_dword v11, v[11:12], off
	s_waitcnt vmcnt(0)
	v_subrev_nc_u32_e32 v11, s5, v11
	v_mul_lo_u32 v12, 0x89, v11
	v_and_b32_e32 v12, 0x1ff, v12
	s_inst_prefetch 0x1
	s_branch .LBB31_13
	.p2align	6
.LBB31_11:                              ;   in Loop: Header=BB31_13 Depth=3
	s_or_b32 exec_lo, exec_lo, s33
	s_andn2_b32 s30, s30, exec_lo
	s_and_b32 s33, s34, exec_lo
	s_or_b32 s30, s30, s33
.LBB31_12:                              ;   in Loop: Header=BB31_13 Depth=3
	s_or_b32 exec_lo, exec_lo, s31
	s_xor_b32 s31, s30, -1
	s_and_b32 s31, exec_lo, s31
	s_or_b32 s29, s31, s29
	s_andn2_b32 exec_lo, exec_lo, s29
	s_cbranch_execz .LBB31_9
.LBB31_13:                              ;   Parent Loop BB31_7 Depth=1
                                        ;     Parent Loop BB31_10 Depth=2
                                        ; =>    This Inner Loop Header: Depth=3
	v_lshl_add_u32 v13, v12, 2, 0
	s_andn2_b32 s30, s30, exec_lo
	s_mov_b32 s31, exec_lo
	ds_read_b32 v14, v13
	s_waitcnt lgkmcnt(0)
	v_cmpx_ne_u32_e64 v14, v11
	s_cbranch_execz .LBB31_12
; %bb.14:                               ;   in Loop: Header=BB31_13 Depth=3
	s_mov_b32 s33, exec_lo
	v_cmpx_ne_u32_e64 s28, v14
	s_xor_b32 s33, exec_lo, s33
; %bb.15:                               ;   in Loop: Header=BB31_13 Depth=3
	v_add_nc_u32_e32 v12, 1, v12
                                        ; implicit-def: $vgpr13
	v_and_b32_e32 v12, 0x1ff, v12
; %bb.16:                               ;   in Loop: Header=BB31_13 Depth=3
	s_or_saveexec_b32 s33, s33
	s_mov_b32 s34, -1
	s_xor_b32 exec_lo, exec_lo, s33
	s_cbranch_execz .LBB31_11
; %bb.17:                               ;   in Loop: Header=BB31_13 Depth=3
	v_mov_b32_e32 v14, s28
	ds_cmpst_rtn_b32 v13, v13, v14, v11
	s_waitcnt lgkmcnt(0)
	v_cmp_ne_u32_e32 vcc_lo, s28, v13
	s_orn2_b32 s34, vcc_lo, exec_lo
	s_branch .LBB31_11
.LBB31_18:
	s_or_b32 exec_lo, exec_lo, s17
.LBB31_19:
	s_bfe_u32 s1, s1, 0x10008
	s_cmp_eq_u32 s1, 0
	s_cbranch_scc1 .LBB31_22
; %bb.20:
	s_waitcnt lgkmcnt(0)
	s_ashr_i32 s17, s16, 31
	v_sub_co_u32 v1, s1, v0, s7
	s_lshl_b64 s[2:3], s[16:17], 3
	v_sub_co_ci_u32_e64 v2, null, 0, 0, s1
	s_add_u32 s2, s12, s2
	s_addc_u32 s3, s13, s3
	s_mov_b32 s4, 0
	s_load_dwordx4 s[8:11], s[2:3], 0x0
	s_mov_b32 s1, exec_lo
	s_waitcnt lgkmcnt(0)
	v_add_co_u32 v1, vcc_lo, s8, v1
	v_add_co_ci_u32_e64 v2, null, s9, v2, vcc_lo
	s_sub_u32 s2, s10, s7
	s_subb_u32 s3, s11, 0
	v_cmpx_gt_i64_e64 s[2:3], v[1:2]
	s_cbranch_execnz .LBB31_36
.LBB31_21:
	s_or_b32 exec_lo, exec_lo, s1
.LBB31_22:
	s_waitcnt lgkmcnt(0)
	s_barrier
	buffer_gl0_inv
	s_and_saveexec_b32 s4, s0
	s_cbranch_execz .LBB31_44
; %bb.23:
	v_mbcnt_lo_u32_b32 v2, -1, 0
	v_lshrrev_b32_e32 v3, 4, v0
	v_mov_b32_e32 v1, 0
	v_cmp_lt_u32_e64 s0, 63, v0
	v_cmp_lt_u32_e64 s1, 0x7f, v0
	v_xor_b32_e32 v2, 31, v2
	v_and_b32_e32 v3, 12, v3
	v_cmp_lt_u32_e64 s2, 0xbf, v0
	v_mov_b32_e32 v4, 0
	s_mov_b32 s5, 0
	v_lshrrev_b32_e64 v2, v2, -1
	v_add_nc_u32_e32 v3, 0, v3
	v_cmp_eq_u32_e32 vcc_lo, 0xff, v0
	s_branch .LBB31_25
.LBB31_24:                              ;   in Loop: Header=BB31_25 Depth=1
	s_or_b32 exec_lo, exec_lo, s3
	s_waitcnt lgkmcnt(0)
	s_barrier
	buffer_gl0_inv
	ds_read_b32 v5, v1 offset:2060
	v_add_co_u32 v7, s3, 0x100, v7
	s_xor_b32 s3, s3, -1
	v_add_nc_u32_e32 v8, 0x400, v8
	s_and_b32 s3, exec_lo, s3
	s_or_b32 s5, s3, s5
	s_waitcnt lgkmcnt(0)
	v_add_nc_u32_e32 v4, v5, v4
	s_andn2_b32 exec_lo, exec_lo, s5
	s_cbranch_execz .LBB31_44
.LBB31_25:                              ; =>This Inner Loop Header: Depth=1
	ds_read_b32 v5, v8
	s_waitcnt lgkmcnt(0)
	s_barrier
	buffer_gl0_inv
	v_cmp_gt_i32_e64 s3, s28, v5
	v_and_b32_e32 v6, s3, v2
	s_bcnt1_i32_b32 s7, s3
	v_mov_b32_e32 v9, s7
	v_bcnt_u32_b32 v6, v6, 0
	ds_write_b32 v3, v9 offset:2048
	s_waitcnt lgkmcnt(0)
	s_barrier
	buffer_gl0_inv
	s_and_saveexec_b32 s7, s0
	s_cbranch_execnz .LBB31_30
; %bb.26:                               ;   in Loop: Header=BB31_25 Depth=1
	s_or_b32 exec_lo, exec_lo, s7
	s_and_saveexec_b32 s7, s1
	s_cbranch_execnz .LBB31_31
.LBB31_27:                              ;   in Loop: Header=BB31_25 Depth=1
	s_or_b32 exec_lo, exec_lo, s7
	s_and_saveexec_b32 s7, s2
	s_cbranch_execnz .LBB31_32
.LBB31_28:                              ;   in Loop: Header=BB31_25 Depth=1
	s_or_b32 exec_lo, exec_lo, s7
	s_and_saveexec_b32 s7, s3
	s_cbranch_execnz .LBB31_33
.LBB31_29:                              ;   in Loop: Header=BB31_25 Depth=1
	s_or_b32 exec_lo, exec_lo, s7
	s_and_saveexec_b32 s3, vcc_lo
	s_cbranch_execz .LBB31_24
	s_branch .LBB31_34
.LBB31_30:                              ;   in Loop: Header=BB31_25 Depth=1
	ds_read_b32 v9, v1 offset:2048
	s_waitcnt lgkmcnt(0)
	v_add_nc_u32_e32 v6, v9, v6
	s_or_b32 exec_lo, exec_lo, s7
	s_and_saveexec_b32 s7, s1
	s_cbranch_execz .LBB31_27
.LBB31_31:                              ;   in Loop: Header=BB31_25 Depth=1
	ds_read_b32 v9, v1 offset:2052
	s_waitcnt lgkmcnt(0)
	v_add_nc_u32_e32 v6, v9, v6
	s_or_b32 exec_lo, exec_lo, s7
	s_and_saveexec_b32 s7, s2
	s_cbranch_execz .LBB31_28
.LBB31_32:                              ;   in Loop: Header=BB31_25 Depth=1
	ds_read_b32 v9, v1 offset:2056
	s_waitcnt lgkmcnt(0)
	v_add_nc_u32_e32 v6, v9, v6
	s_or_b32 exec_lo, exec_lo, s7
	s_and_saveexec_b32 s7, s3
	s_cbranch_execz .LBB31_29
.LBB31_33:                              ;   in Loop: Header=BB31_25 Depth=1
	v_lshlrev_b32_e32 v9, 2, v4
	v_lshlrev_b32_e32 v10, 2, v6
	v_add_nc_u32_e32 v9, 0, v9
	v_add3_u32 v9, v9, v10, -4
	ds_write_b32 v9, v5
	s_or_b32 exec_lo, exec_lo, s7
	s_and_saveexec_b32 s3, vcc_lo
	s_cbranch_execz .LBB31_24
.LBB31_34:                              ;   in Loop: Header=BB31_25 Depth=1
	ds_write_b32 v1, v6 offset:2060
	s_branch .LBB31_24
.LBB31_35:                              ;   in Loop: Header=BB31_36 Depth=1
	s_inst_prefetch 0x2
	s_or_b32 exec_lo, exec_lo, s5
	v_add_co_u32 v1, vcc_lo, 0x100, v1
	v_add_co_ci_u32_e64 v2, null, 0, v2, vcc_lo
	v_cmp_le_i64_e32 vcc_lo, s[2:3], v[1:2]
	s_or_b32 s4, vcc_lo, s4
	s_andn2_b32 exec_lo, exec_lo, s4
	s_cbranch_execz .LBB31_21
.LBB31_36:                              ; =>This Loop Header: Depth=1
                                        ;     Child Loop BB31_39 Depth 2
	v_lshlrev_b64 v[3:4], 2, v[1:2]
	s_mov_b32 s5, 0
                                        ; implicit-def: $sgpr8
	v_add_co_u32 v3, vcc_lo, s14, v3
	v_add_co_ci_u32_e64 v4, null, s15, v4, vcc_lo
	global_load_dword v3, v[3:4], off
	s_waitcnt vmcnt(0)
	v_subrev_nc_u32_e32 v3, s7, v3
	v_mul_lo_u32 v4, 0x89, v3
	v_and_b32_e32 v4, 0x1ff, v4
	s_inst_prefetch 0x1
	s_branch .LBB31_39
	.p2align	6
.LBB31_37:                              ;   in Loop: Header=BB31_39 Depth=2
	s_or_b32 exec_lo, exec_lo, s10
	s_andn2_b32 s8, s8, exec_lo
	s_and_b32 s10, s11, exec_lo
	s_or_b32 s8, s8, s10
.LBB31_38:                              ;   in Loop: Header=BB31_39 Depth=2
	s_or_b32 exec_lo, exec_lo, s9
	s_xor_b32 s9, s8, -1
	s_and_b32 s9, exec_lo, s9
	s_or_b32 s5, s9, s5
	s_andn2_b32 exec_lo, exec_lo, s5
	s_cbranch_execz .LBB31_35
.LBB31_39:                              ;   Parent Loop BB31_36 Depth=1
                                        ; =>  This Inner Loop Header: Depth=2
	v_lshl_add_u32 v5, v4, 2, 0
	s_andn2_b32 s8, s8, exec_lo
	s_mov_b32 s9, exec_lo
	ds_read_b32 v6, v5
	s_waitcnt lgkmcnt(0)
	v_cmpx_ne_u32_e64 v6, v3
	s_cbranch_execz .LBB31_38
; %bb.40:                               ;   in Loop: Header=BB31_39 Depth=2
	s_mov_b32 s10, exec_lo
	v_cmpx_ne_u32_e64 s28, v6
	s_xor_b32 s10, exec_lo, s10
; %bb.41:                               ;   in Loop: Header=BB31_39 Depth=2
	v_add_nc_u32_e32 v4, 1, v4
                                        ; implicit-def: $vgpr5
	v_and_b32_e32 v4, 0x1ff, v4
; %bb.42:                               ;   in Loop: Header=BB31_39 Depth=2
	s_or_saveexec_b32 s10, s10
	s_mov_b32 s11, -1
	s_xor_b32 exec_lo, exec_lo, s10
	s_cbranch_execz .LBB31_37
; %bb.43:                               ;   in Loop: Header=BB31_39 Depth=2
	v_mov_b32_e32 v6, s28
	ds_cmpst_rtn_b32 v5, v5, v6, v3
	s_waitcnt lgkmcnt(0)
	v_cmp_ne_u32_e32 vcc_lo, s28, v5
	s_orn2_b32 s11, vcc_lo, exec_lo
	s_branch .LBB31_37
.LBB31_44:
	s_or_b32 exec_lo, exec_lo, s4
	s_ashr_i32 s17, s16, 31
	s_mov_b32 s4, exec_lo
	s_lshl_b64 s[0:1], s[16:17], 3
	s_add_u32 s0, s24, s0
	s_addc_u32 s1, s25, s1
	s_load_dwordx4 s[0:3], s[0:1], 0x0
	s_waitcnt lgkmcnt(0)
	s_sub_i32 s3, s2, s0
	v_cmpx_gt_i32_e64 s3, v0
	s_cbranch_execz .LBB31_54
; %bb.45:
	s_sub_u32 s4, s0, s6
	s_subb_u32 s5, s1, 0
	s_sub_i32 s0, s0, s2
	s_and_b32 s1, s3, 7
	s_cmp_lt_u32 s0, -7
	s_mov_b32 s9, 0
	s_cselect_b32 s2, -1, 0
	s_and_b32 s7, s3, -8
	s_cmp_lg_u32 s1, 0
	s_cselect_b32 s8, -1, 0
	s_branch .LBB31_47
.LBB31_46:                              ;   in Loop: Header=BB31_47 Depth=1
	v_lshlrev_b64 v[1:2], 2, v[1:2]
	v_add_nc_u32_e32 v0, 0x100, v0
	s_waitcnt lgkmcnt(0)
	v_add_nc_u32_e32 v3, s6, v3
	v_cmp_le_i32_e32 vcc_lo, s3, v0
	v_add_co_u32 v1, s0, s26, v1
	v_add_co_ci_u32_e64 v2, null, s27, v2, s0
	s_or_b32 s9, vcc_lo, s9
	global_store_dword v[1:2], v3, off
	s_andn2_b32 exec_lo, exec_lo, s9
	s_cbranch_execz .LBB31_54
.LBB31_47:                              ; =>This Loop Header: Depth=1
                                        ;     Child Loop BB31_49 Depth 2
                                        ;     Child Loop BB31_53 Depth 2
	v_lshl_add_u32 v1, v0, 2, 0
	s_andn2_b32 vcc_lo, exec_lo, s2
	s_mov_b32 s0, 0
	ds_read_b32 v3, v1
	v_mov_b32_e32 v1, s4
	v_mov_b32_e32 v2, s5
	s_cbranch_vccnz .LBB31_51
; %bb.48:                               ;   in Loop: Header=BB31_47 Depth=1
	v_mov_b32_e32 v1, s4
	v_mov_b32_e32 v2, s5
	s_mov_b32 s10, 0
	s_mov_b32 s11, 0
.LBB31_49:                              ;   Parent Loop BB31_47 Depth=1
                                        ; =>  This Inner Loop Header: Depth=2
	v_mov_b32_e32 v10, s11
	s_add_i32 s10, s10, 8
	s_add_i32 s11, s11, 32
	s_cmp_eq_u32 s7, s10
	ds_read2_b32 v[4:5], v10 offset1:1
	ds_read2_b32 v[6:7], v10 offset0:2 offset1:3
	ds_read2_b32 v[8:9], v10 offset0:4 offset1:5
	;; [unrolled: 1-line block ×3, first 2 shown]
	s_waitcnt lgkmcnt(3)
	v_cmp_gt_i32_e32 vcc_lo, v3, v4
	v_cndmask_b32_e64 v4, 0, 1, vcc_lo
	v_cmp_gt_i32_e32 vcc_lo, v3, v5
	v_cndmask_b32_e64 v5, 0, 1, vcc_lo
	s_waitcnt lgkmcnt(2)
	v_cmp_gt_i32_e32 vcc_lo, v3, v6
	v_cndmask_b32_e64 v6, 0, 1, vcc_lo
	v_cmp_gt_i32_e32 vcc_lo, v3, v7
	v_cndmask_b32_e64 v7, 0, 1, vcc_lo
	s_waitcnt lgkmcnt(1)
	v_cmp_gt_i32_e32 vcc_lo, v3, v8
	v_cndmask_b32_e64 v8, 0, 1, vcc_lo
	v_add_co_u32 v1, vcc_lo, v1, v4
	v_add_co_ci_u32_e64 v2, null, 0, v2, vcc_lo
	v_cmp_gt_i32_e32 vcc_lo, v3, v9
	v_add_co_u32 v1, s0, v1, v5
	v_add_co_ci_u32_e64 v2, null, 0, v2, s0
	v_cndmask_b32_e64 v4, 0, 1, vcc_lo
	v_add_co_u32 v1, vcc_lo, v1, v6
	v_add_co_ci_u32_e64 v2, null, 0, v2, vcc_lo
	s_waitcnt lgkmcnt(0)
	v_cmp_gt_i32_e32 vcc_lo, v3, v10
	v_add_co_u32 v1, s0, v1, v7
	v_add_co_ci_u32_e64 v2, null, 0, v2, s0
	v_cndmask_b32_e64 v5, 0, 1, vcc_lo
	v_add_co_u32 v1, vcc_lo, v1, v8
	v_add_co_ci_u32_e64 v2, null, 0, v2, vcc_lo
	v_cmp_gt_i32_e32 vcc_lo, v3, v11
	v_add_co_u32 v1, s0, v1, v4
	v_add_co_ci_u32_e64 v2, null, 0, v2, s0
	v_cndmask_b32_e64 v4, 0, 1, vcc_lo
	v_add_co_u32 v1, vcc_lo, v1, v5
	v_add_co_ci_u32_e64 v2, null, 0, v2, vcc_lo
	v_add_co_u32 v1, vcc_lo, v1, v4
	v_add_co_ci_u32_e64 v2, null, 0, v2, vcc_lo
	s_cbranch_scc0 .LBB31_49
; %bb.50:                               ;   in Loop: Header=BB31_47 Depth=1
	s_mov_b32 s0, s7
.LBB31_51:                              ;   in Loop: Header=BB31_47 Depth=1
	s_andn2_b32 vcc_lo, exec_lo, s8
	s_cbranch_vccnz .LBB31_46
; %bb.52:                               ;   in Loop: Header=BB31_47 Depth=1
	s_lshl_b32 s0, s0, 2
	s_mov_b32 s10, s1
	s_add_i32 s0, s0, 0
.LBB31_53:                              ;   Parent Loop BB31_47 Depth=1
                                        ; =>  This Inner Loop Header: Depth=2
	v_mov_b32_e32 v4, s0
	s_add_i32 s10, s10, -1
	s_add_i32 s0, s0, 4
	s_cmp_lg_u32 s10, 0
	ds_read_b32 v4, v4
	s_waitcnt lgkmcnt(0)
	v_cmp_gt_i32_e32 vcc_lo, v3, v4
	v_cndmask_b32_e64 v4, 0, 1, vcc_lo
	v_add_co_u32 v1, vcc_lo, v1, v4
	v_add_co_ci_u32_e64 v2, null, 0, v2, vcc_lo
	s_cbranch_scc1 .LBB31_53
	s_branch .LBB31_46
.LBB31_54:
	s_endpgm
	.section	.rodata,"a",@progbits
	.p2align	6, 0x0
	.amdhsa_kernel _ZN9rocsparseL35csrgemm_symbolic_fill_block_per_rowILj256ELj32ELj512ELj137ELj64EliEEvT5_PKS1_S3_PKT4_S3_S6_S3_S6_S3_S6_PS1_21rocsparse_index_base_S8_S8_S8_bb
		.amdhsa_group_segment_fixed_size 0
		.amdhsa_private_segment_fixed_size 0
		.amdhsa_kernarg_size 108
		.amdhsa_user_sgpr_count 6
		.amdhsa_user_sgpr_private_segment_buffer 1
		.amdhsa_user_sgpr_dispatch_ptr 0
		.amdhsa_user_sgpr_queue_ptr 0
		.amdhsa_user_sgpr_kernarg_segment_ptr 1
		.amdhsa_user_sgpr_dispatch_id 0
		.amdhsa_user_sgpr_flat_scratch_init 0
		.amdhsa_user_sgpr_private_segment_size 0
		.amdhsa_wavefront_size32 1
		.amdhsa_uses_dynamic_stack 0
		.amdhsa_system_sgpr_private_segment_wavefront_offset 0
		.amdhsa_system_sgpr_workgroup_id_x 1
		.amdhsa_system_sgpr_workgroup_id_y 0
		.amdhsa_system_sgpr_workgroup_id_z 0
		.amdhsa_system_sgpr_workgroup_info 0
		.amdhsa_system_vgpr_workitem_id 0
		.amdhsa_next_free_vgpr 15
		.amdhsa_next_free_sgpr 40
		.amdhsa_reserve_vcc 1
		.amdhsa_reserve_flat_scratch 0
		.amdhsa_float_round_mode_32 0
		.amdhsa_float_round_mode_16_64 0
		.amdhsa_float_denorm_mode_32 3
		.amdhsa_float_denorm_mode_16_64 3
		.amdhsa_dx10_clamp 1
		.amdhsa_ieee_mode 1
		.amdhsa_fp16_overflow 0
		.amdhsa_workgroup_processor_mode 1
		.amdhsa_memory_ordered 1
		.amdhsa_forward_progress 1
		.amdhsa_shared_vgpr_count 0
		.amdhsa_exception_fp_ieee_invalid_op 0
		.amdhsa_exception_fp_denorm_src 0
		.amdhsa_exception_fp_ieee_div_zero 0
		.amdhsa_exception_fp_ieee_overflow 0
		.amdhsa_exception_fp_ieee_underflow 0
		.amdhsa_exception_fp_ieee_inexact 0
		.amdhsa_exception_int_div_zero 0
	.end_amdhsa_kernel
	.section	.text._ZN9rocsparseL35csrgemm_symbolic_fill_block_per_rowILj256ELj32ELj512ELj137ELj64EliEEvT5_PKS1_S3_PKT4_S3_S6_S3_S6_S3_S6_PS1_21rocsparse_index_base_S8_S8_S8_bb,"axG",@progbits,_ZN9rocsparseL35csrgemm_symbolic_fill_block_per_rowILj256ELj32ELj512ELj137ELj64EliEEvT5_PKS1_S3_PKT4_S3_S6_S3_S6_S3_S6_PS1_21rocsparse_index_base_S8_S8_S8_bb,comdat
.Lfunc_end31:
	.size	_ZN9rocsparseL35csrgemm_symbolic_fill_block_per_rowILj256ELj32ELj512ELj137ELj64EliEEvT5_PKS1_S3_PKT4_S3_S6_S3_S6_S3_S6_PS1_21rocsparse_index_base_S8_S8_S8_bb, .Lfunc_end31-_ZN9rocsparseL35csrgemm_symbolic_fill_block_per_rowILj256ELj32ELj512ELj137ELj64EliEEvT5_PKS1_S3_PKT4_S3_S6_S3_S6_S3_S6_PS1_21rocsparse_index_base_S8_S8_S8_bb
                                        ; -- End function
	.set _ZN9rocsparseL35csrgemm_symbolic_fill_block_per_rowILj256ELj32ELj512ELj137ELj64EliEEvT5_PKS1_S3_PKT4_S3_S6_S3_S6_S3_S6_PS1_21rocsparse_index_base_S8_S8_S8_bb.num_vgpr, 15
	.set _ZN9rocsparseL35csrgemm_symbolic_fill_block_per_rowILj256ELj32ELj512ELj137ELj64EliEEvT5_PKS1_S3_PKT4_S3_S6_S3_S6_S3_S6_PS1_21rocsparse_index_base_S8_S8_S8_bb.num_agpr, 0
	.set _ZN9rocsparseL35csrgemm_symbolic_fill_block_per_rowILj256ELj32ELj512ELj137ELj64EliEEvT5_PKS1_S3_PKT4_S3_S6_S3_S6_S3_S6_PS1_21rocsparse_index_base_S8_S8_S8_bb.numbered_sgpr, 40
	.set _ZN9rocsparseL35csrgemm_symbolic_fill_block_per_rowILj256ELj32ELj512ELj137ELj64EliEEvT5_PKS1_S3_PKT4_S3_S6_S3_S6_S3_S6_PS1_21rocsparse_index_base_S8_S8_S8_bb.num_named_barrier, 0
	.set _ZN9rocsparseL35csrgemm_symbolic_fill_block_per_rowILj256ELj32ELj512ELj137ELj64EliEEvT5_PKS1_S3_PKT4_S3_S6_S3_S6_S3_S6_PS1_21rocsparse_index_base_S8_S8_S8_bb.private_seg_size, 0
	.set _ZN9rocsparseL35csrgemm_symbolic_fill_block_per_rowILj256ELj32ELj512ELj137ELj64EliEEvT5_PKS1_S3_PKT4_S3_S6_S3_S6_S3_S6_PS1_21rocsparse_index_base_S8_S8_S8_bb.uses_vcc, 1
	.set _ZN9rocsparseL35csrgemm_symbolic_fill_block_per_rowILj256ELj32ELj512ELj137ELj64EliEEvT5_PKS1_S3_PKT4_S3_S6_S3_S6_S3_S6_PS1_21rocsparse_index_base_S8_S8_S8_bb.uses_flat_scratch, 0
	.set _ZN9rocsparseL35csrgemm_symbolic_fill_block_per_rowILj256ELj32ELj512ELj137ELj64EliEEvT5_PKS1_S3_PKT4_S3_S6_S3_S6_S3_S6_PS1_21rocsparse_index_base_S8_S8_S8_bb.has_dyn_sized_stack, 0
	.set _ZN9rocsparseL35csrgemm_symbolic_fill_block_per_rowILj256ELj32ELj512ELj137ELj64EliEEvT5_PKS1_S3_PKT4_S3_S6_S3_S6_S3_S6_PS1_21rocsparse_index_base_S8_S8_S8_bb.has_recursion, 0
	.set _ZN9rocsparseL35csrgemm_symbolic_fill_block_per_rowILj256ELj32ELj512ELj137ELj64EliEEvT5_PKS1_S3_PKT4_S3_S6_S3_S6_S3_S6_PS1_21rocsparse_index_base_S8_S8_S8_bb.has_indirect_call, 0
	.section	.AMDGPU.csdata,"",@progbits
; Kernel info:
; codeLenInByte = 2348
; TotalNumSgprs: 42
; NumVgprs: 15
; ScratchSize: 0
; MemoryBound: 0
; FloatMode: 240
; IeeeMode: 1
; LDSByteSize: 0 bytes/workgroup (compile time only)
; SGPRBlocks: 0
; VGPRBlocks: 1
; NumSGPRsForWavesPerEU: 42
; NumVGPRsForWavesPerEU: 15
; Occupancy: 16
; WaveLimiterHint : 1
; COMPUTE_PGM_RSRC2:SCRATCH_EN: 0
; COMPUTE_PGM_RSRC2:USER_SGPR: 6
; COMPUTE_PGM_RSRC2:TRAP_HANDLER: 0
; COMPUTE_PGM_RSRC2:TGID_X_EN: 1
; COMPUTE_PGM_RSRC2:TGID_Y_EN: 0
; COMPUTE_PGM_RSRC2:TGID_Z_EN: 0
; COMPUTE_PGM_RSRC2:TIDIG_COMP_CNT: 0
	.section	.text._ZN9rocsparseL35csrgemm_symbolic_fill_block_per_rowILj512ELj32ELj1024ELj137ELj32EliEEvT5_PKS1_S3_PKT4_S3_S6_S3_S6_S3_S6_PS1_21rocsparse_index_base_S8_S8_S8_bb,"axG",@progbits,_ZN9rocsparseL35csrgemm_symbolic_fill_block_per_rowILj512ELj32ELj1024ELj137ELj32EliEEvT5_PKS1_S3_PKT4_S3_S6_S3_S6_S3_S6_PS1_21rocsparse_index_base_S8_S8_S8_bb,comdat
	.globl	_ZN9rocsparseL35csrgemm_symbolic_fill_block_per_rowILj512ELj32ELj1024ELj137ELj32EliEEvT5_PKS1_S3_PKT4_S3_S6_S3_S6_S3_S6_PS1_21rocsparse_index_base_S8_S8_S8_bb ; -- Begin function _ZN9rocsparseL35csrgemm_symbolic_fill_block_per_rowILj512ELj32ELj1024ELj137ELj32EliEEvT5_PKS1_S3_PKT4_S3_S6_S3_S6_S3_S6_PS1_21rocsparse_index_base_S8_S8_S8_bb
	.p2align	8
	.type	_ZN9rocsparseL35csrgemm_symbolic_fill_block_per_rowILj512ELj32ELj1024ELj137ELj32EliEEvT5_PKS1_S3_PKT4_S3_S6_S3_S6_S3_S6_PS1_21rocsparse_index_base_S8_S8_S8_bb,@function
_ZN9rocsparseL35csrgemm_symbolic_fill_block_per_rowILj512ELj32ELj1024ELj137ELj32EliEEvT5_PKS1_S3_PKT4_S3_S6_S3_S6_S3_S6_PS1_21rocsparse_index_base_S8_S8_S8_bb: ; @_ZN9rocsparseL35csrgemm_symbolic_fill_block_per_rowILj512ELj32ELj1024ELj137ELj32EliEEvT5_PKS1_S3_PKT4_S3_S6_S3_S6_S3_S6_PS1_21rocsparse_index_base_S8_S8_S8_bb
; %bb.0:
	s_clause 0x3
	s_load_dword s30, s[4:5], 0x0
	s_load_dwordx4 s[24:27], s[4:5], 0x48
	s_load_dwordx8 s[8:15], s[4:5], 0x28
	s_load_dwordx8 s[16:23], s[4:5], 0x8
	v_lshl_add_u32 v7, v0, 2, 0
	v_or_b32_e32 v8, 0xfffffe00, v0
	s_mov_b32 s0, 0
	v_mov_b32_e32 v1, v7
	v_mov_b32_e32 v3, v8
	s_waitcnt lgkmcnt(0)
	v_mov_b32_e32 v2, s30
.LBB32_1:                               ; =>This Inner Loop Header: Depth=1
	v_add_co_u32 v3, s1, 0x200, v3
	s_xor_b32 s1, s1, -1
	ds_write_b32 v1, v2
	v_add_nc_u32_e32 v1, 0x800, v1
	s_and_b32 s1, exec_lo, s1
	s_or_b32 s0, s1, s0
	s_andn2_b32 exec_lo, exec_lo, s0
	s_cbranch_execnz .LBB32_1
; %bb.2:
	s_or_b32 exec_lo, exec_lo, s0
	s_load_dword s2, s[4:5], 0x68
	s_waitcnt lgkmcnt(0)
	s_barrier
	buffer_gl0_inv
	s_load_dword s0, s[16:17], 0x0
	s_mov_b32 s1, 0
	v_lshrrev_b32_e32 v9, 5, v0
	s_bitcmp1_b32 s2, 0
	s_cselect_b32 s3, -1, 0
	s_waitcnt lgkmcnt(0)
	s_add_i32 s0, s0, s6
	s_lshl_b64 s[0:1], s[0:1], 2
	s_add_u32 s0, s18, s0
	s_addc_u32 s1, s19, s1
	s_load_dwordx4 s[16:19], s[4:5], 0x58
	s_load_dword s28, s[0:1], 0x0
	s_and_b32 vcc_lo, exec_lo, s3
	s_cbranch_vccz .LBB32_18
; %bb.3:
	s_waitcnt lgkmcnt(0)
	s_ashr_i32 s29, s28, 31
	s_mov_b32 s3, exec_lo
	s_lshl_b64 s[0:1], s[28:29], 3
	s_add_u32 s0, s20, s0
	s_addc_u32 s1, s21, s1
	s_load_dwordx4 s[4:7], s[0:1], 0x0
	v_sub_co_u32 v1, s0, v9, s16
	v_sub_co_ci_u32_e64 v2, null, 0, 0, s0
	s_waitcnt lgkmcnt(0)
	v_add_co_u32 v1, vcc_lo, s4, v1
	v_add_co_ci_u32_e64 v2, null, s5, v2, vcc_lo
	s_sub_u32 s0, s6, s16
	s_subb_u32 s1, s7, 0
	v_cmpx_gt_i64_e64 s[0:1], v[1:2]
	s_cbranch_execz .LBB32_17
; %bb.4:
	v_and_b32_e32 v3, 31, v0
	s_mov_b32 s5, s17
	v_sub_co_u32 v10, s4, v3, s17
	v_sub_co_ci_u32_e64 v11, null, 0, 0, s4
	s_mov_b32 s4, 0
	s_branch .LBB32_6
.LBB32_5:                               ;   in Loop: Header=BB32_6 Depth=1
	s_or_b32 exec_lo, exec_lo, s6
	v_add_co_u32 v1, vcc_lo, v1, 16
	v_add_co_ci_u32_e64 v2, null, 0, v2, vcc_lo
	v_cmp_le_i64_e32 vcc_lo, s[0:1], v[1:2]
	s_or_b32 s4, vcc_lo, s4
	s_andn2_b32 exec_lo, exec_lo, s4
	s_cbranch_execz .LBB32_17
.LBB32_6:                               ; =>This Loop Header: Depth=1
                                        ;     Child Loop BB32_9 Depth 2
                                        ;       Child Loop BB32_12 Depth 3
	v_lshlrev_b64 v[3:4], 2, v[1:2]
	s_mov_b32 s6, exec_lo
	v_add_co_u32 v3, vcc_lo, s22, v3
	v_add_co_ci_u32_e64 v4, null, s23, v4, vcc_lo
	global_load_dword v3, v[3:4], off
	s_waitcnt vmcnt(0)
	v_subrev_nc_u32_e32 v3, s16, v3
	v_ashrrev_i32_e32 v4, 31, v3
	v_lshlrev_b64 v[3:4], 3, v[3:4]
	v_add_co_u32 v3, vcc_lo, s8, v3
	v_add_co_ci_u32_e64 v4, null, s9, v4, vcc_lo
	global_load_dwordx4 v[12:15], v[3:4], off
	s_waitcnt vmcnt(0)
	v_sub_co_u32 v3, vcc_lo, v14, s5
	v_subrev_co_ci_u32_e64 v4, null, 0, v15, vcc_lo
	v_add_co_u32 v5, vcc_lo, v12, v10
	v_add_co_ci_u32_e64 v6, null, v13, v11, vcc_lo
	v_cmpx_lt_i64_e64 v[5:6], v[3:4]
	s_cbranch_execz .LBB32_5
; %bb.7:                                ;   in Loop: Header=BB32_6 Depth=1
	s_mov_b32 s7, 0
	s_branch .LBB32_9
.LBB32_8:                               ;   in Loop: Header=BB32_9 Depth=2
	s_inst_prefetch 0x2
	s_or_b32 exec_lo, exec_lo, s20
	v_add_co_u32 v5, vcc_lo, v5, 32
	v_add_co_ci_u32_e64 v6, null, 0, v6, vcc_lo
	v_cmp_ge_i64_e32 vcc_lo, v[5:6], v[3:4]
	s_or_b32 s7, vcc_lo, s7
	s_andn2_b32 exec_lo, exec_lo, s7
	s_cbranch_execz .LBB32_5
.LBB32_9:                               ;   Parent Loop BB32_6 Depth=1
                                        ; =>  This Loop Header: Depth=2
                                        ;       Child Loop BB32_12 Depth 3
	v_lshlrev_b64 v[12:13], 2, v[5:6]
	s_mov_b32 s20, 0
                                        ; implicit-def: $sgpr21
	v_add_co_u32 v12, vcc_lo, s10, v12
	v_add_co_ci_u32_e64 v13, null, s11, v13, vcc_lo
	global_load_dword v12, v[12:13], off
	s_waitcnt vmcnt(0)
	v_subrev_nc_u32_e32 v12, s17, v12
	v_mul_lo_u32 v13, 0x89, v12
	v_and_b32_e32 v13, 0x3ff, v13
	s_inst_prefetch 0x1
	s_branch .LBB32_12
	.p2align	6
.LBB32_10:                              ;   in Loop: Header=BB32_12 Depth=3
	s_or_b32 exec_lo, exec_lo, s31
	s_andn2_b32 s21, s21, exec_lo
	s_and_b32 s31, s33, exec_lo
	s_or_b32 s21, s21, s31
.LBB32_11:                              ;   in Loop: Header=BB32_12 Depth=3
	s_or_b32 exec_lo, exec_lo, s29
	s_xor_b32 s29, s21, -1
	s_and_b32 s29, exec_lo, s29
	s_or_b32 s20, s29, s20
	s_andn2_b32 exec_lo, exec_lo, s20
	s_cbranch_execz .LBB32_8
.LBB32_12:                              ;   Parent Loop BB32_6 Depth=1
                                        ;     Parent Loop BB32_9 Depth=2
                                        ; =>    This Inner Loop Header: Depth=3
	v_lshl_add_u32 v14, v13, 2, 0
	s_andn2_b32 s21, s21, exec_lo
	s_mov_b32 s29, exec_lo
	ds_read_b32 v15, v14
	s_waitcnt lgkmcnt(0)
	v_cmpx_ne_u32_e64 v15, v12
	s_cbranch_execz .LBB32_11
; %bb.13:                               ;   in Loop: Header=BB32_12 Depth=3
	s_mov_b32 s31, exec_lo
	v_cmpx_ne_u32_e64 s30, v15
	s_xor_b32 s31, exec_lo, s31
; %bb.14:                               ;   in Loop: Header=BB32_12 Depth=3
	v_add_nc_u32_e32 v13, 1, v13
                                        ; implicit-def: $vgpr14
	v_and_b32_e32 v13, 0x3ff, v13
; %bb.15:                               ;   in Loop: Header=BB32_12 Depth=3
	s_or_saveexec_b32 s31, s31
	s_mov_b32 s33, -1
	s_xor_b32 exec_lo, exec_lo, s31
	s_cbranch_execz .LBB32_10
; %bb.16:                               ;   in Loop: Header=BB32_12 Depth=3
	v_mov_b32_e32 v15, s30
	ds_cmpst_rtn_b32 v14, v14, v15, v12
	s_waitcnt lgkmcnt(0)
	v_cmp_ne_u32_e32 vcc_lo, s30, v14
	s_orn2_b32 s33, vcc_lo, exec_lo
	s_branch .LBB32_10
.LBB32_17:
	s_or_b32 exec_lo, exec_lo, s3
.LBB32_18:
	s_bfe_u32 s0, s2, 0x10008
	s_cmp_eq_u32 s0, 0
	s_cbranch_scc1 .LBB32_21
; %bb.19:
	s_waitcnt lgkmcnt(0)
	s_ashr_i32 s29, s28, 31
	v_sub_co_u32 v1, s4, v0, s19
	s_lshl_b64 s[0:1], s[28:29], 3
	v_sub_co_ci_u32_e64 v2, null, 0, 0, s4
	s_add_u32 s0, s12, s0
	s_addc_u32 s1, s13, s1
	s_load_dwordx4 s[0:3], s[0:1], 0x0
	s_waitcnt lgkmcnt(0)
	v_add_co_u32 v1, vcc_lo, s0, v1
	v_add_co_ci_u32_e64 v2, null, s1, v2, vcc_lo
	s_sub_u32 s0, s2, s19
	s_subb_u32 s1, s3, 0
	s_mov_b32 s3, 0
	s_mov_b32 s2, exec_lo
	v_cmpx_gt_i64_e64 s[0:1], v[1:2]
	s_cbranch_execnz .LBB32_58
.LBB32_20:
	s_or_b32 exec_lo, exec_lo, s2
.LBB32_21:
	v_mbcnt_lo_u32_b32 v3, -1, 0
	v_mov_b32_e32 v1, 0
	v_lshl_add_u32 v2, v9, 2, 0
	v_cmp_lt_u32_e64 s0, 31, v0
	v_cmp_lt_u32_e64 s1, 63, v0
	v_xor_b32_e32 v3, 31, v3
	v_cmp_lt_u32_e64 s2, 0x5f, v0
	v_cmp_lt_u32_e64 s3, 0x7f, v0
	v_cmp_lt_u32_e64 s4, 0x9f, v0
	v_cmp_lt_u32_e64 s5, 0xbf, v0
	v_lshrrev_b32_e64 v3, v3, -1
	v_cmp_lt_u32_e64 s6, 0xdf, v0
	v_cmp_lt_u32_e64 s7, 0xff, v0
	;; [unrolled: 1-line block ×9, first 2 shown]
	v_mov_b32_e32 v4, 0
	s_waitcnt lgkmcnt(0)
	s_mov_b32 s16, 0
	v_cmp_eq_u32_e32 vcc_lo, 0x1ff, v0
	s_barrier
	buffer_gl0_inv
	s_branch .LBB32_23
.LBB32_22:                              ;   in Loop: Header=BB32_23 Depth=1
	s_or_b32 exec_lo, exec_lo, s15
	s_waitcnt lgkmcnt(0)
	s_barrier
	buffer_gl0_inv
	ds_read_b32 v5, v1 offset:4156
	v_add_co_u32 v8, s15, 0x200, v8
	s_xor_b32 s15, s15, -1
	v_add_nc_u32_e32 v7, 0x800, v7
	s_and_b32 s15, exec_lo, s15
	s_or_b32 s16, s15, s16
	s_waitcnt lgkmcnt(0)
	v_add_nc_u32_e32 v4, v5, v4
	s_andn2_b32 exec_lo, exec_lo, s16
	s_cbranch_execz .LBB32_66
.LBB32_23:                              ; =>This Inner Loop Header: Depth=1
	ds_read_b32 v5, v7
	s_waitcnt lgkmcnt(0)
	s_barrier
	buffer_gl0_inv
	v_cmp_gt_i32_e64 s15, s30, v5
	v_and_b32_e32 v6, s15, v3
	s_bcnt1_i32_b32 s17, s15
	v_mov_b32_e32 v9, s17
	v_bcnt_u32_b32 v6, v6, 0
	ds_write_b32 v2, v9 offset:4096
	s_waitcnt lgkmcnt(0)
	s_barrier
	buffer_gl0_inv
	s_and_saveexec_b32 s17, s0
	s_cbranch_execnz .LBB32_40
; %bb.24:                               ;   in Loop: Header=BB32_23 Depth=1
	s_or_b32 exec_lo, exec_lo, s17
	s_and_saveexec_b32 s17, s1
	s_cbranch_execnz .LBB32_41
.LBB32_25:                              ;   in Loop: Header=BB32_23 Depth=1
	s_or_b32 exec_lo, exec_lo, s17
	s_and_saveexec_b32 s17, s2
	s_cbranch_execnz .LBB32_42
.LBB32_26:                              ;   in Loop: Header=BB32_23 Depth=1
	s_or_b32 exec_lo, exec_lo, s17
	s_and_saveexec_b32 s17, s3
	s_cbranch_execnz .LBB32_43
.LBB32_27:                              ;   in Loop: Header=BB32_23 Depth=1
	s_or_b32 exec_lo, exec_lo, s17
	s_and_saveexec_b32 s17, s4
	s_cbranch_execnz .LBB32_44
.LBB32_28:                              ;   in Loop: Header=BB32_23 Depth=1
	s_or_b32 exec_lo, exec_lo, s17
	s_and_saveexec_b32 s17, s5
	s_cbranch_execnz .LBB32_45
.LBB32_29:                              ;   in Loop: Header=BB32_23 Depth=1
	s_or_b32 exec_lo, exec_lo, s17
	s_and_saveexec_b32 s17, s6
	s_cbranch_execnz .LBB32_46
.LBB32_30:                              ;   in Loop: Header=BB32_23 Depth=1
	s_or_b32 exec_lo, exec_lo, s17
	s_and_saveexec_b32 s17, s7
	s_cbranch_execnz .LBB32_47
.LBB32_31:                              ;   in Loop: Header=BB32_23 Depth=1
	s_or_b32 exec_lo, exec_lo, s17
	s_and_saveexec_b32 s17, s8
	s_cbranch_execnz .LBB32_48
.LBB32_32:                              ;   in Loop: Header=BB32_23 Depth=1
	s_or_b32 exec_lo, exec_lo, s17
	s_and_saveexec_b32 s17, s9
	s_cbranch_execnz .LBB32_49
.LBB32_33:                              ;   in Loop: Header=BB32_23 Depth=1
	s_or_b32 exec_lo, exec_lo, s17
	s_and_saveexec_b32 s17, s10
	s_cbranch_execnz .LBB32_50
.LBB32_34:                              ;   in Loop: Header=BB32_23 Depth=1
	s_or_b32 exec_lo, exec_lo, s17
	s_and_saveexec_b32 s17, s11
	s_cbranch_execnz .LBB32_51
.LBB32_35:                              ;   in Loop: Header=BB32_23 Depth=1
	s_or_b32 exec_lo, exec_lo, s17
	s_and_saveexec_b32 s17, s12
	s_cbranch_execnz .LBB32_52
.LBB32_36:                              ;   in Loop: Header=BB32_23 Depth=1
	s_or_b32 exec_lo, exec_lo, s17
	s_and_saveexec_b32 s17, s13
	s_cbranch_execnz .LBB32_53
.LBB32_37:                              ;   in Loop: Header=BB32_23 Depth=1
	s_or_b32 exec_lo, exec_lo, s17
	s_and_saveexec_b32 s17, s14
	s_cbranch_execnz .LBB32_54
.LBB32_38:                              ;   in Loop: Header=BB32_23 Depth=1
	s_or_b32 exec_lo, exec_lo, s17
	s_and_saveexec_b32 s17, s15
	s_cbranch_execnz .LBB32_55
.LBB32_39:                              ;   in Loop: Header=BB32_23 Depth=1
	s_or_b32 exec_lo, exec_lo, s17
	s_and_saveexec_b32 s15, vcc_lo
	s_cbranch_execz .LBB32_22
	s_branch .LBB32_56
.LBB32_40:                              ;   in Loop: Header=BB32_23 Depth=1
	ds_read_b32 v9, v1 offset:4096
	s_waitcnt lgkmcnt(0)
	v_add_nc_u32_e32 v6, v9, v6
	s_or_b32 exec_lo, exec_lo, s17
	s_and_saveexec_b32 s17, s1
	s_cbranch_execz .LBB32_25
.LBB32_41:                              ;   in Loop: Header=BB32_23 Depth=1
	ds_read_b32 v9, v1 offset:4100
	s_waitcnt lgkmcnt(0)
	v_add_nc_u32_e32 v6, v9, v6
	s_or_b32 exec_lo, exec_lo, s17
	s_and_saveexec_b32 s17, s2
	s_cbranch_execz .LBB32_26
.LBB32_42:                              ;   in Loop: Header=BB32_23 Depth=1
	ds_read_b32 v9, v1 offset:4104
	s_waitcnt lgkmcnt(0)
	v_add_nc_u32_e32 v6, v9, v6
	s_or_b32 exec_lo, exec_lo, s17
	s_and_saveexec_b32 s17, s3
	s_cbranch_execz .LBB32_27
.LBB32_43:                              ;   in Loop: Header=BB32_23 Depth=1
	ds_read_b32 v9, v1 offset:4108
	s_waitcnt lgkmcnt(0)
	v_add_nc_u32_e32 v6, v9, v6
	s_or_b32 exec_lo, exec_lo, s17
	s_and_saveexec_b32 s17, s4
	s_cbranch_execz .LBB32_28
.LBB32_44:                              ;   in Loop: Header=BB32_23 Depth=1
	ds_read_b32 v9, v1 offset:4112
	s_waitcnt lgkmcnt(0)
	v_add_nc_u32_e32 v6, v9, v6
	s_or_b32 exec_lo, exec_lo, s17
	s_and_saveexec_b32 s17, s5
	s_cbranch_execz .LBB32_29
.LBB32_45:                              ;   in Loop: Header=BB32_23 Depth=1
	ds_read_b32 v9, v1 offset:4116
	s_waitcnt lgkmcnt(0)
	v_add_nc_u32_e32 v6, v9, v6
	s_or_b32 exec_lo, exec_lo, s17
	s_and_saveexec_b32 s17, s6
	s_cbranch_execz .LBB32_30
.LBB32_46:                              ;   in Loop: Header=BB32_23 Depth=1
	ds_read_b32 v9, v1 offset:4120
	s_waitcnt lgkmcnt(0)
	v_add_nc_u32_e32 v6, v9, v6
	s_or_b32 exec_lo, exec_lo, s17
	s_and_saveexec_b32 s17, s7
	s_cbranch_execz .LBB32_31
.LBB32_47:                              ;   in Loop: Header=BB32_23 Depth=1
	ds_read_b32 v9, v1 offset:4124
	s_waitcnt lgkmcnt(0)
	v_add_nc_u32_e32 v6, v9, v6
	s_or_b32 exec_lo, exec_lo, s17
	s_and_saveexec_b32 s17, s8
	s_cbranch_execz .LBB32_32
.LBB32_48:                              ;   in Loop: Header=BB32_23 Depth=1
	ds_read_b32 v9, v1 offset:4128
	s_waitcnt lgkmcnt(0)
	v_add_nc_u32_e32 v6, v9, v6
	s_or_b32 exec_lo, exec_lo, s17
	s_and_saveexec_b32 s17, s9
	s_cbranch_execz .LBB32_33
.LBB32_49:                              ;   in Loop: Header=BB32_23 Depth=1
	ds_read_b32 v9, v1 offset:4132
	s_waitcnt lgkmcnt(0)
	v_add_nc_u32_e32 v6, v9, v6
	s_or_b32 exec_lo, exec_lo, s17
	s_and_saveexec_b32 s17, s10
	s_cbranch_execz .LBB32_34
.LBB32_50:                              ;   in Loop: Header=BB32_23 Depth=1
	ds_read_b32 v9, v1 offset:4136
	s_waitcnt lgkmcnt(0)
	v_add_nc_u32_e32 v6, v9, v6
	s_or_b32 exec_lo, exec_lo, s17
	s_and_saveexec_b32 s17, s11
	s_cbranch_execz .LBB32_35
.LBB32_51:                              ;   in Loop: Header=BB32_23 Depth=1
	ds_read_b32 v9, v1 offset:4140
	s_waitcnt lgkmcnt(0)
	v_add_nc_u32_e32 v6, v9, v6
	s_or_b32 exec_lo, exec_lo, s17
	s_and_saveexec_b32 s17, s12
	s_cbranch_execz .LBB32_36
.LBB32_52:                              ;   in Loop: Header=BB32_23 Depth=1
	ds_read_b32 v9, v1 offset:4144
	s_waitcnt lgkmcnt(0)
	v_add_nc_u32_e32 v6, v9, v6
	s_or_b32 exec_lo, exec_lo, s17
	s_and_saveexec_b32 s17, s13
	s_cbranch_execz .LBB32_37
.LBB32_53:                              ;   in Loop: Header=BB32_23 Depth=1
	ds_read_b32 v9, v1 offset:4148
	s_waitcnt lgkmcnt(0)
	v_add_nc_u32_e32 v6, v9, v6
	s_or_b32 exec_lo, exec_lo, s17
	s_and_saveexec_b32 s17, s14
	s_cbranch_execz .LBB32_38
.LBB32_54:                              ;   in Loop: Header=BB32_23 Depth=1
	ds_read_b32 v9, v1 offset:4152
	s_waitcnt lgkmcnt(0)
	v_add_nc_u32_e32 v6, v9, v6
	s_or_b32 exec_lo, exec_lo, s17
	s_and_saveexec_b32 s17, s15
	s_cbranch_execz .LBB32_39
.LBB32_55:                              ;   in Loop: Header=BB32_23 Depth=1
	v_lshlrev_b32_e32 v9, 2, v4
	v_lshlrev_b32_e32 v10, 2, v6
	v_add_nc_u32_e32 v9, 0, v9
	v_add3_u32 v9, v9, v10, -4
	ds_write_b32 v9, v5
	s_or_b32 exec_lo, exec_lo, s17
	s_and_saveexec_b32 s15, vcc_lo
	s_cbranch_execz .LBB32_22
.LBB32_56:                              ;   in Loop: Header=BB32_23 Depth=1
	ds_write_b32 v1, v6 offset:4156
	s_branch .LBB32_22
.LBB32_57:                              ;   in Loop: Header=BB32_58 Depth=1
	s_inst_prefetch 0x2
	s_or_b32 exec_lo, exec_lo, s4
	v_add_co_u32 v1, vcc_lo, 0x200, v1
	v_add_co_ci_u32_e64 v2, null, 0, v2, vcc_lo
	v_cmp_le_i64_e32 vcc_lo, s[0:1], v[1:2]
	s_or_b32 s3, vcc_lo, s3
	s_andn2_b32 exec_lo, exec_lo, s3
	s_cbranch_execz .LBB32_20
.LBB32_58:                              ; =>This Loop Header: Depth=1
                                        ;     Child Loop BB32_61 Depth 2
	v_lshlrev_b64 v[3:4], 2, v[1:2]
	s_mov_b32 s4, 0
                                        ; implicit-def: $sgpr5
	v_add_co_u32 v3, vcc_lo, s14, v3
	v_add_co_ci_u32_e64 v4, null, s15, v4, vcc_lo
	global_load_dword v3, v[3:4], off
	s_waitcnt vmcnt(0)
	v_subrev_nc_u32_e32 v3, s19, v3
	v_mul_lo_u32 v4, 0x89, v3
	v_and_b32_e32 v4, 0x3ff, v4
	s_inst_prefetch 0x1
	s_branch .LBB32_61
	.p2align	6
.LBB32_59:                              ;   in Loop: Header=BB32_61 Depth=2
	s_or_b32 exec_lo, exec_lo, s7
	s_andn2_b32 s5, s5, exec_lo
	s_and_b32 s7, s8, exec_lo
	s_or_b32 s5, s5, s7
.LBB32_60:                              ;   in Loop: Header=BB32_61 Depth=2
	s_or_b32 exec_lo, exec_lo, s6
	s_xor_b32 s6, s5, -1
	s_and_b32 s6, exec_lo, s6
	s_or_b32 s4, s6, s4
	s_andn2_b32 exec_lo, exec_lo, s4
	s_cbranch_execz .LBB32_57
.LBB32_61:                              ;   Parent Loop BB32_58 Depth=1
                                        ; =>  This Inner Loop Header: Depth=2
	v_lshl_add_u32 v5, v4, 2, 0
	s_andn2_b32 s5, s5, exec_lo
	s_mov_b32 s6, exec_lo
	ds_read_b32 v6, v5
	s_waitcnt lgkmcnt(0)
	v_cmpx_ne_u32_e64 v6, v3
	s_cbranch_execz .LBB32_60
; %bb.62:                               ;   in Loop: Header=BB32_61 Depth=2
	s_mov_b32 s7, exec_lo
	v_cmpx_ne_u32_e64 s30, v6
	s_xor_b32 s7, exec_lo, s7
; %bb.63:                               ;   in Loop: Header=BB32_61 Depth=2
	v_add_nc_u32_e32 v4, 1, v4
                                        ; implicit-def: $vgpr5
	v_and_b32_e32 v4, 0x3ff, v4
; %bb.64:                               ;   in Loop: Header=BB32_61 Depth=2
	s_or_saveexec_b32 s7, s7
	s_mov_b32 s8, -1
	s_xor_b32 exec_lo, exec_lo, s7
	s_cbranch_execz .LBB32_59
; %bb.65:                               ;   in Loop: Header=BB32_61 Depth=2
	v_mov_b32_e32 v6, s30
	ds_cmpst_rtn_b32 v5, v5, v6, v3
	s_waitcnt lgkmcnt(0)
	v_cmp_ne_u32_e32 vcc_lo, s30, v5
	s_orn2_b32 s8, vcc_lo, exec_lo
	s_branch .LBB32_59
.LBB32_66:
	s_or_b32 exec_lo, exec_lo, s16
	s_ashr_i32 s29, s28, 31
	s_mov_b32 s4, exec_lo
	s_lshl_b64 s[0:1], s[28:29], 3
	s_add_u32 s0, s24, s0
	s_addc_u32 s1, s25, s1
	s_load_dwordx4 s[0:3], s[0:1], 0x0
	s_waitcnt lgkmcnt(0)
	s_sub_i32 s3, s2, s0
	v_cmpx_gt_i32_e64 s3, v0
	s_cbranch_execz .LBB32_76
; %bb.67:
	s_sub_u32 s4, s0, s18
	s_subb_u32 s5, s1, 0
	s_sub_i32 s0, s0, s2
	s_and_b32 s1, s3, 7
	s_cmp_lt_u32 s0, -7
	s_mov_b32 s8, 0
	s_cselect_b32 s2, -1, 0
	s_and_b32 s6, s3, -8
	s_cmp_lg_u32 s1, 0
	s_cselect_b32 s7, -1, 0
	s_branch .LBB32_69
.LBB32_68:                              ;   in Loop: Header=BB32_69 Depth=1
	v_lshlrev_b64 v[1:2], 2, v[1:2]
	v_add_nc_u32_e32 v0, 0x200, v0
	s_waitcnt lgkmcnt(0)
	v_add_nc_u32_e32 v3, s18, v3
	v_cmp_le_i32_e32 vcc_lo, s3, v0
	v_add_co_u32 v1, s0, s26, v1
	v_add_co_ci_u32_e64 v2, null, s27, v2, s0
	s_or_b32 s8, vcc_lo, s8
	global_store_dword v[1:2], v3, off
	s_andn2_b32 exec_lo, exec_lo, s8
	s_cbranch_execz .LBB32_76
.LBB32_69:                              ; =>This Loop Header: Depth=1
                                        ;     Child Loop BB32_71 Depth 2
                                        ;     Child Loop BB32_75 Depth 2
	v_lshl_add_u32 v1, v0, 2, 0
	s_andn2_b32 vcc_lo, exec_lo, s2
	s_mov_b32 s0, 0
	ds_read_b32 v3, v1
	v_mov_b32_e32 v1, s4
	v_mov_b32_e32 v2, s5
	s_cbranch_vccnz .LBB32_73
; %bb.70:                               ;   in Loop: Header=BB32_69 Depth=1
	v_mov_b32_e32 v1, s4
	v_mov_b32_e32 v2, s5
	s_mov_b32 s9, 0
	s_mov_b32 s10, 0
.LBB32_71:                              ;   Parent Loop BB32_69 Depth=1
                                        ; =>  This Inner Loop Header: Depth=2
	v_mov_b32_e32 v10, s10
	s_add_i32 s9, s9, 8
	s_add_i32 s10, s10, 32
	s_cmp_eq_u32 s6, s9
	ds_read2_b32 v[4:5], v10 offset1:1
	ds_read2_b32 v[6:7], v10 offset0:2 offset1:3
	ds_read2_b32 v[8:9], v10 offset0:4 offset1:5
	;; [unrolled: 1-line block ×3, first 2 shown]
	s_waitcnt lgkmcnt(3)
	v_cmp_gt_i32_e32 vcc_lo, v3, v4
	v_cndmask_b32_e64 v4, 0, 1, vcc_lo
	v_cmp_gt_i32_e32 vcc_lo, v3, v5
	v_cndmask_b32_e64 v5, 0, 1, vcc_lo
	s_waitcnt lgkmcnt(2)
	v_cmp_gt_i32_e32 vcc_lo, v3, v6
	v_cndmask_b32_e64 v6, 0, 1, vcc_lo
	v_cmp_gt_i32_e32 vcc_lo, v3, v7
	v_cndmask_b32_e64 v7, 0, 1, vcc_lo
	s_waitcnt lgkmcnt(1)
	v_cmp_gt_i32_e32 vcc_lo, v3, v8
	v_cndmask_b32_e64 v8, 0, 1, vcc_lo
	v_add_co_u32 v1, vcc_lo, v1, v4
	v_add_co_ci_u32_e64 v2, null, 0, v2, vcc_lo
	v_cmp_gt_i32_e32 vcc_lo, v3, v9
	v_add_co_u32 v1, s0, v1, v5
	v_add_co_ci_u32_e64 v2, null, 0, v2, s0
	v_cndmask_b32_e64 v4, 0, 1, vcc_lo
	v_add_co_u32 v1, vcc_lo, v1, v6
	v_add_co_ci_u32_e64 v2, null, 0, v2, vcc_lo
	s_waitcnt lgkmcnt(0)
	v_cmp_gt_i32_e32 vcc_lo, v3, v10
	v_add_co_u32 v1, s0, v1, v7
	v_add_co_ci_u32_e64 v2, null, 0, v2, s0
	v_cndmask_b32_e64 v5, 0, 1, vcc_lo
	v_add_co_u32 v1, vcc_lo, v1, v8
	v_add_co_ci_u32_e64 v2, null, 0, v2, vcc_lo
	v_cmp_gt_i32_e32 vcc_lo, v3, v11
	v_add_co_u32 v1, s0, v1, v4
	v_add_co_ci_u32_e64 v2, null, 0, v2, s0
	v_cndmask_b32_e64 v4, 0, 1, vcc_lo
	v_add_co_u32 v1, vcc_lo, v1, v5
	v_add_co_ci_u32_e64 v2, null, 0, v2, vcc_lo
	v_add_co_u32 v1, vcc_lo, v1, v4
	v_add_co_ci_u32_e64 v2, null, 0, v2, vcc_lo
	s_cbranch_scc0 .LBB32_71
; %bb.72:                               ;   in Loop: Header=BB32_69 Depth=1
	s_mov_b32 s0, s6
.LBB32_73:                              ;   in Loop: Header=BB32_69 Depth=1
	s_andn2_b32 vcc_lo, exec_lo, s7
	s_cbranch_vccnz .LBB32_68
; %bb.74:                               ;   in Loop: Header=BB32_69 Depth=1
	s_lshl_b32 s0, s0, 2
	s_mov_b32 s9, s1
	s_add_i32 s0, s0, 0
.LBB32_75:                              ;   Parent Loop BB32_69 Depth=1
                                        ; =>  This Inner Loop Header: Depth=2
	v_mov_b32_e32 v4, s0
	s_add_i32 s9, s9, -1
	s_add_i32 s0, s0, 4
	s_cmp_lg_u32 s9, 0
	ds_read_b32 v4, v4
	s_waitcnt lgkmcnt(0)
	v_cmp_gt_i32_e32 vcc_lo, v3, v4
	v_cndmask_b32_e64 v4, 0, 1, vcc_lo
	v_add_co_u32 v1, vcc_lo, v1, v4
	v_add_co_ci_u32_e64 v2, null, 0, v2, vcc_lo
	s_cbranch_scc1 .LBB32_75
	s_branch .LBB32_68
.LBB32_76:
	s_endpgm
	.section	.rodata,"a",@progbits
	.p2align	6, 0x0
	.amdhsa_kernel _ZN9rocsparseL35csrgemm_symbolic_fill_block_per_rowILj512ELj32ELj1024ELj137ELj32EliEEvT5_PKS1_S3_PKT4_S3_S6_S3_S6_S3_S6_PS1_21rocsparse_index_base_S8_S8_S8_bb
		.amdhsa_group_segment_fixed_size 0
		.amdhsa_private_segment_fixed_size 0
		.amdhsa_kernarg_size 108
		.amdhsa_user_sgpr_count 6
		.amdhsa_user_sgpr_private_segment_buffer 1
		.amdhsa_user_sgpr_dispatch_ptr 0
		.amdhsa_user_sgpr_queue_ptr 0
		.amdhsa_user_sgpr_kernarg_segment_ptr 1
		.amdhsa_user_sgpr_dispatch_id 0
		.amdhsa_user_sgpr_flat_scratch_init 0
		.amdhsa_user_sgpr_private_segment_size 0
		.amdhsa_wavefront_size32 1
		.amdhsa_uses_dynamic_stack 0
		.amdhsa_system_sgpr_private_segment_wavefront_offset 0
		.amdhsa_system_sgpr_workgroup_id_x 1
		.amdhsa_system_sgpr_workgroup_id_y 0
		.amdhsa_system_sgpr_workgroup_id_z 0
		.amdhsa_system_sgpr_workgroup_info 0
		.amdhsa_system_vgpr_workitem_id 0
		.amdhsa_next_free_vgpr 16
		.amdhsa_next_free_sgpr 34
		.amdhsa_reserve_vcc 1
		.amdhsa_reserve_flat_scratch 0
		.amdhsa_float_round_mode_32 0
		.amdhsa_float_round_mode_16_64 0
		.amdhsa_float_denorm_mode_32 3
		.amdhsa_float_denorm_mode_16_64 3
		.amdhsa_dx10_clamp 1
		.amdhsa_ieee_mode 1
		.amdhsa_fp16_overflow 0
		.amdhsa_workgroup_processor_mode 1
		.amdhsa_memory_ordered 1
		.amdhsa_forward_progress 1
		.amdhsa_shared_vgpr_count 0
		.amdhsa_exception_fp_ieee_invalid_op 0
		.amdhsa_exception_fp_denorm_src 0
		.amdhsa_exception_fp_ieee_div_zero 0
		.amdhsa_exception_fp_ieee_overflow 0
		.amdhsa_exception_fp_ieee_underflow 0
		.amdhsa_exception_fp_ieee_inexact 0
		.amdhsa_exception_int_div_zero 0
	.end_amdhsa_kernel
	.section	.text._ZN9rocsparseL35csrgemm_symbolic_fill_block_per_rowILj512ELj32ELj1024ELj137ELj32EliEEvT5_PKS1_S3_PKT4_S3_S6_S3_S6_S3_S6_PS1_21rocsparse_index_base_S8_S8_S8_bb,"axG",@progbits,_ZN9rocsparseL35csrgemm_symbolic_fill_block_per_rowILj512ELj32ELj1024ELj137ELj32EliEEvT5_PKS1_S3_PKT4_S3_S6_S3_S6_S3_S6_PS1_21rocsparse_index_base_S8_S8_S8_bb,comdat
.Lfunc_end32:
	.size	_ZN9rocsparseL35csrgemm_symbolic_fill_block_per_rowILj512ELj32ELj1024ELj137ELj32EliEEvT5_PKS1_S3_PKT4_S3_S6_S3_S6_S3_S6_PS1_21rocsparse_index_base_S8_S8_S8_bb, .Lfunc_end32-_ZN9rocsparseL35csrgemm_symbolic_fill_block_per_rowILj512ELj32ELj1024ELj137ELj32EliEEvT5_PKS1_S3_PKT4_S3_S6_S3_S6_S3_S6_PS1_21rocsparse_index_base_S8_S8_S8_bb
                                        ; -- End function
	.set _ZN9rocsparseL35csrgemm_symbolic_fill_block_per_rowILj512ELj32ELj1024ELj137ELj32EliEEvT5_PKS1_S3_PKT4_S3_S6_S3_S6_S3_S6_PS1_21rocsparse_index_base_S8_S8_S8_bb.num_vgpr, 16
	.set _ZN9rocsparseL35csrgemm_symbolic_fill_block_per_rowILj512ELj32ELj1024ELj137ELj32EliEEvT5_PKS1_S3_PKT4_S3_S6_S3_S6_S3_S6_PS1_21rocsparse_index_base_S8_S8_S8_bb.num_agpr, 0
	.set _ZN9rocsparseL35csrgemm_symbolic_fill_block_per_rowILj512ELj32ELj1024ELj137ELj32EliEEvT5_PKS1_S3_PKT4_S3_S6_S3_S6_S3_S6_PS1_21rocsparse_index_base_S8_S8_S8_bb.numbered_sgpr, 34
	.set _ZN9rocsparseL35csrgemm_symbolic_fill_block_per_rowILj512ELj32ELj1024ELj137ELj32EliEEvT5_PKS1_S3_PKT4_S3_S6_S3_S6_S3_S6_PS1_21rocsparse_index_base_S8_S8_S8_bb.num_named_barrier, 0
	.set _ZN9rocsparseL35csrgemm_symbolic_fill_block_per_rowILj512ELj32ELj1024ELj137ELj32EliEEvT5_PKS1_S3_PKT4_S3_S6_S3_S6_S3_S6_PS1_21rocsparse_index_base_S8_S8_S8_bb.private_seg_size, 0
	.set _ZN9rocsparseL35csrgemm_symbolic_fill_block_per_rowILj512ELj32ELj1024ELj137ELj32EliEEvT5_PKS1_S3_PKT4_S3_S6_S3_S6_S3_S6_PS1_21rocsparse_index_base_S8_S8_S8_bb.uses_vcc, 1
	.set _ZN9rocsparseL35csrgemm_symbolic_fill_block_per_rowILj512ELj32ELj1024ELj137ELj32EliEEvT5_PKS1_S3_PKT4_S3_S6_S3_S6_S3_S6_PS1_21rocsparse_index_base_S8_S8_S8_bb.uses_flat_scratch, 0
	.set _ZN9rocsparseL35csrgemm_symbolic_fill_block_per_rowILj512ELj32ELj1024ELj137ELj32EliEEvT5_PKS1_S3_PKT4_S3_S6_S3_S6_S3_S6_PS1_21rocsparse_index_base_S8_S8_S8_bb.has_dyn_sized_stack, 0
	.set _ZN9rocsparseL35csrgemm_symbolic_fill_block_per_rowILj512ELj32ELj1024ELj137ELj32EliEEvT5_PKS1_S3_PKT4_S3_S6_S3_S6_S3_S6_PS1_21rocsparse_index_base_S8_S8_S8_bb.has_recursion, 0
	.set _ZN9rocsparseL35csrgemm_symbolic_fill_block_per_rowILj512ELj32ELj1024ELj137ELj32EliEEvT5_PKS1_S3_PKT4_S3_S6_S3_S6_S3_S6_PS1_21rocsparse_index_base_S8_S8_S8_bb.has_indirect_call, 0
	.section	.AMDGPU.csdata,"",@progbits
; Kernel info:
; codeLenInByte = 2860
; TotalNumSgprs: 36
; NumVgprs: 16
; ScratchSize: 0
; MemoryBound: 0
; FloatMode: 240
; IeeeMode: 1
; LDSByteSize: 0 bytes/workgroup (compile time only)
; SGPRBlocks: 0
; VGPRBlocks: 1
; NumSGPRsForWavesPerEU: 36
; NumVGPRsForWavesPerEU: 16
; Occupancy: 16
; WaveLimiterHint : 1
; COMPUTE_PGM_RSRC2:SCRATCH_EN: 0
; COMPUTE_PGM_RSRC2:USER_SGPR: 6
; COMPUTE_PGM_RSRC2:TRAP_HANDLER: 0
; COMPUTE_PGM_RSRC2:TGID_X_EN: 1
; COMPUTE_PGM_RSRC2:TGID_Y_EN: 0
; COMPUTE_PGM_RSRC2:TGID_Z_EN: 0
; COMPUTE_PGM_RSRC2:TIDIG_COMP_CNT: 0
	.section	.text._ZN9rocsparseL35csrgemm_symbolic_fill_block_per_rowILj512ELj32ELj1024ELj137ELj64EliEEvT5_PKS1_S3_PKT4_S3_S6_S3_S6_S3_S6_PS1_21rocsparse_index_base_S8_S8_S8_bb,"axG",@progbits,_ZN9rocsparseL35csrgemm_symbolic_fill_block_per_rowILj512ELj32ELj1024ELj137ELj64EliEEvT5_PKS1_S3_PKT4_S3_S6_S3_S6_S3_S6_PS1_21rocsparse_index_base_S8_S8_S8_bb,comdat
	.globl	_ZN9rocsparseL35csrgemm_symbolic_fill_block_per_rowILj512ELj32ELj1024ELj137ELj64EliEEvT5_PKS1_S3_PKT4_S3_S6_S3_S6_S3_S6_PS1_21rocsparse_index_base_S8_S8_S8_bb ; -- Begin function _ZN9rocsparseL35csrgemm_symbolic_fill_block_per_rowILj512ELj32ELj1024ELj137ELj64EliEEvT5_PKS1_S3_PKT4_S3_S6_S3_S6_S3_S6_PS1_21rocsparse_index_base_S8_S8_S8_bb
	.p2align	8
	.type	_ZN9rocsparseL35csrgemm_symbolic_fill_block_per_rowILj512ELj32ELj1024ELj137ELj64EliEEvT5_PKS1_S3_PKT4_S3_S6_S3_S6_S3_S6_PS1_21rocsparse_index_base_S8_S8_S8_bb,@function
_ZN9rocsparseL35csrgemm_symbolic_fill_block_per_rowILj512ELj32ELj1024ELj137ELj64EliEEvT5_PKS1_S3_PKT4_S3_S6_S3_S6_S3_S6_PS1_21rocsparse_index_base_S8_S8_S8_bb: ; @_ZN9rocsparseL35csrgemm_symbolic_fill_block_per_rowILj512ELj32ELj1024ELj137ELj64EliEEvT5_PKS1_S3_PKT4_S3_S6_S3_S6_S3_S6_PS1_21rocsparse_index_base_S8_S8_S8_bb
; %bb.0:
	s_clause 0x3
	s_load_dword s30, s[4:5], 0x0
	s_load_dwordx4 s[24:27], s[4:5], 0x48
	s_load_dwordx8 s[8:15], s[4:5], 0x28
	s_load_dwordx8 s[16:23], s[4:5], 0x8
	v_lshl_add_u32 v7, v0, 2, 0
	v_or_b32_e32 v8, 0xfffffe00, v0
	s_mov_b32 s0, 0
	v_mov_b32_e32 v1, v7
	v_mov_b32_e32 v3, v8
	s_waitcnt lgkmcnt(0)
	v_mov_b32_e32 v2, s30
.LBB33_1:                               ; =>This Inner Loop Header: Depth=1
	v_add_co_u32 v3, s1, 0x200, v3
	s_xor_b32 s1, s1, -1
	ds_write_b32 v1, v2
	v_add_nc_u32_e32 v1, 0x800, v1
	s_and_b32 s1, exec_lo, s1
	s_or_b32 s0, s1, s0
	s_andn2_b32 exec_lo, exec_lo, s0
	s_cbranch_execnz .LBB33_1
; %bb.2:
	s_or_b32 exec_lo, exec_lo, s0
	s_load_dword s2, s[4:5], 0x68
	s_waitcnt lgkmcnt(0)
	s_barrier
	buffer_gl0_inv
	s_load_dword s0, s[16:17], 0x0
	s_mov_b32 s1, 0
	s_bitcmp1_b32 s2, 0
	s_cselect_b32 s3, -1, 0
	s_waitcnt lgkmcnt(0)
	s_add_i32 s0, s0, s6
	s_lshl_b64 s[0:1], s[0:1], 2
	s_add_u32 s0, s18, s0
	s_addc_u32 s1, s19, s1
	s_load_dwordx4 s[16:19], s[4:5], 0x58
	s_load_dword s28, s[0:1], 0x0
	s_and_b32 vcc_lo, exec_lo, s3
	s_cbranch_vccz .LBB33_18
; %bb.3:
	s_waitcnt lgkmcnt(0)
	s_ashr_i32 s29, s28, 31
	v_lshrrev_b32_e32 v1, 5, v0
	s_lshl_b64 s[0:1], s[28:29], 3
	s_mov_b32 s3, exec_lo
	s_add_u32 s0, s20, s0
	s_addc_u32 s1, s21, s1
	s_load_dwordx4 s[4:7], s[0:1], 0x0
	v_sub_co_u32 v1, s0, v1, s16
	v_sub_co_ci_u32_e64 v2, null, 0, 0, s0
	s_waitcnt lgkmcnt(0)
	v_add_co_u32 v1, vcc_lo, s4, v1
	v_add_co_ci_u32_e64 v2, null, s5, v2, vcc_lo
	s_sub_u32 s0, s6, s16
	s_subb_u32 s1, s7, 0
	v_cmpx_gt_i64_e64 s[0:1], v[1:2]
	s_cbranch_execz .LBB33_17
; %bb.4:
	v_and_b32_e32 v3, 31, v0
	s_mov_b32 s5, s17
	v_sub_co_u32 v9, s4, v3, s17
	v_sub_co_ci_u32_e64 v10, null, 0, 0, s4
	s_mov_b32 s4, 0
	s_branch .LBB33_6
.LBB33_5:                               ;   in Loop: Header=BB33_6 Depth=1
	s_or_b32 exec_lo, exec_lo, s6
	v_add_co_u32 v1, vcc_lo, v1, 16
	v_add_co_ci_u32_e64 v2, null, 0, v2, vcc_lo
	v_cmp_le_i64_e32 vcc_lo, s[0:1], v[1:2]
	s_or_b32 s4, vcc_lo, s4
	s_andn2_b32 exec_lo, exec_lo, s4
	s_cbranch_execz .LBB33_17
.LBB33_6:                               ; =>This Loop Header: Depth=1
                                        ;     Child Loop BB33_9 Depth 2
                                        ;       Child Loop BB33_12 Depth 3
	v_lshlrev_b64 v[3:4], 2, v[1:2]
	s_mov_b32 s6, exec_lo
	v_add_co_u32 v3, vcc_lo, s22, v3
	v_add_co_ci_u32_e64 v4, null, s23, v4, vcc_lo
	global_load_dword v3, v[3:4], off
	s_waitcnt vmcnt(0)
	v_subrev_nc_u32_e32 v3, s16, v3
	v_ashrrev_i32_e32 v4, 31, v3
	v_lshlrev_b64 v[3:4], 3, v[3:4]
	v_add_co_u32 v3, vcc_lo, s8, v3
	v_add_co_ci_u32_e64 v4, null, s9, v4, vcc_lo
	global_load_dwordx4 v[11:14], v[3:4], off
	s_waitcnt vmcnt(0)
	v_sub_co_u32 v3, vcc_lo, v13, s5
	v_subrev_co_ci_u32_e64 v4, null, 0, v14, vcc_lo
	v_add_co_u32 v5, vcc_lo, v11, v9
	v_add_co_ci_u32_e64 v6, null, v12, v10, vcc_lo
	v_cmpx_lt_i64_e64 v[5:6], v[3:4]
	s_cbranch_execz .LBB33_5
; %bb.7:                                ;   in Loop: Header=BB33_6 Depth=1
	s_mov_b32 s7, 0
	s_branch .LBB33_9
.LBB33_8:                               ;   in Loop: Header=BB33_9 Depth=2
	s_inst_prefetch 0x2
	s_or_b32 exec_lo, exec_lo, s20
	v_add_co_u32 v5, vcc_lo, v5, 32
	v_add_co_ci_u32_e64 v6, null, 0, v6, vcc_lo
	v_cmp_ge_i64_e32 vcc_lo, v[5:6], v[3:4]
	s_or_b32 s7, vcc_lo, s7
	s_andn2_b32 exec_lo, exec_lo, s7
	s_cbranch_execz .LBB33_5
.LBB33_9:                               ;   Parent Loop BB33_6 Depth=1
                                        ; =>  This Loop Header: Depth=2
                                        ;       Child Loop BB33_12 Depth 3
	v_lshlrev_b64 v[11:12], 2, v[5:6]
	s_mov_b32 s20, 0
                                        ; implicit-def: $sgpr21
	v_add_co_u32 v11, vcc_lo, s10, v11
	v_add_co_ci_u32_e64 v12, null, s11, v12, vcc_lo
	global_load_dword v11, v[11:12], off
	s_waitcnt vmcnt(0)
	v_subrev_nc_u32_e32 v11, s17, v11
	v_mul_lo_u32 v12, 0x89, v11
	v_and_b32_e32 v12, 0x3ff, v12
	s_inst_prefetch 0x1
	s_branch .LBB33_12
	.p2align	6
.LBB33_10:                              ;   in Loop: Header=BB33_12 Depth=3
	s_or_b32 exec_lo, exec_lo, s31
	s_andn2_b32 s21, s21, exec_lo
	s_and_b32 s31, s33, exec_lo
	s_or_b32 s21, s21, s31
.LBB33_11:                              ;   in Loop: Header=BB33_12 Depth=3
	s_or_b32 exec_lo, exec_lo, s29
	s_xor_b32 s29, s21, -1
	s_and_b32 s29, exec_lo, s29
	s_or_b32 s20, s29, s20
	s_andn2_b32 exec_lo, exec_lo, s20
	s_cbranch_execz .LBB33_8
.LBB33_12:                              ;   Parent Loop BB33_6 Depth=1
                                        ;     Parent Loop BB33_9 Depth=2
                                        ; =>    This Inner Loop Header: Depth=3
	v_lshl_add_u32 v13, v12, 2, 0
	s_andn2_b32 s21, s21, exec_lo
	s_mov_b32 s29, exec_lo
	ds_read_b32 v14, v13
	s_waitcnt lgkmcnt(0)
	v_cmpx_ne_u32_e64 v14, v11
	s_cbranch_execz .LBB33_11
; %bb.13:                               ;   in Loop: Header=BB33_12 Depth=3
	s_mov_b32 s31, exec_lo
	v_cmpx_ne_u32_e64 s30, v14
	s_xor_b32 s31, exec_lo, s31
; %bb.14:                               ;   in Loop: Header=BB33_12 Depth=3
	v_add_nc_u32_e32 v12, 1, v12
                                        ; implicit-def: $vgpr13
	v_and_b32_e32 v12, 0x3ff, v12
; %bb.15:                               ;   in Loop: Header=BB33_12 Depth=3
	s_or_saveexec_b32 s31, s31
	s_mov_b32 s33, -1
	s_xor_b32 exec_lo, exec_lo, s31
	s_cbranch_execz .LBB33_10
; %bb.16:                               ;   in Loop: Header=BB33_12 Depth=3
	v_mov_b32_e32 v14, s30
	ds_cmpst_rtn_b32 v13, v13, v14, v11
	s_waitcnt lgkmcnt(0)
	v_cmp_ne_u32_e32 vcc_lo, s30, v13
	s_orn2_b32 s33, vcc_lo, exec_lo
	s_branch .LBB33_10
.LBB33_17:
	s_or_b32 exec_lo, exec_lo, s3
.LBB33_18:
	s_bfe_u32 s0, s2, 0x10008
	s_cmp_eq_u32 s0, 0
	s_cbranch_scc1 .LBB33_21
; %bb.19:
	s_waitcnt lgkmcnt(0)
	s_ashr_i32 s29, s28, 31
	v_sub_co_u32 v1, s4, v0, s19
	s_lshl_b64 s[0:1], s[28:29], 3
	v_sub_co_ci_u32_e64 v2, null, 0, 0, s4
	s_add_u32 s0, s12, s0
	s_addc_u32 s1, s13, s1
	s_load_dwordx4 s[0:3], s[0:1], 0x0
	s_waitcnt lgkmcnt(0)
	v_add_co_u32 v1, vcc_lo, s0, v1
	v_add_co_ci_u32_e64 v2, null, s1, v2, vcc_lo
	s_sub_u32 s0, s2, s19
	s_subb_u32 s1, s3, 0
	s_mov_b32 s3, 0
	s_mov_b32 s2, exec_lo
	v_cmpx_gt_i64_e64 s[0:1], v[1:2]
	s_cbranch_execnz .LBB33_42
.LBB33_20:
	s_or_b32 exec_lo, exec_lo, s2
.LBB33_21:
	v_mbcnt_lo_u32_b32 v2, -1, 0
	v_lshrrev_b32_e32 v3, 4, v0
	v_mov_b32_e32 v1, 0
	v_cmp_lt_u32_e64 s0, 63, v0
	v_cmp_lt_u32_e64 s1, 0x7f, v0
	v_xor_b32_e32 v2, 31, v2
	v_and_b32_e32 v3, 28, v3
	v_cmp_lt_u32_e64 s2, 0xbf, v0
	v_cmp_lt_u32_e64 s3, 0xff, v0
	;; [unrolled: 1-line block ×3, first 2 shown]
	v_lshrrev_b32_e64 v2, v2, -1
	v_add_nc_u32_e32 v3, 0, v3
	v_cmp_lt_u32_e64 s5, 0x17f, v0
	v_cmp_lt_u32_e64 s6, 0x1bf, v0
	v_mov_b32_e32 v4, 0
	s_mov_b32 s8, 0
	v_cmp_eq_u32_e32 vcc_lo, 0x1ff, v0
	s_waitcnt lgkmcnt(0)
	s_barrier
	buffer_gl0_inv
	s_branch .LBB33_23
.LBB33_22:                              ;   in Loop: Header=BB33_23 Depth=1
	s_or_b32 exec_lo, exec_lo, s7
	s_waitcnt lgkmcnt(0)
	s_barrier
	buffer_gl0_inv
	ds_read_b32 v5, v1 offset:4124
	v_add_co_u32 v8, s7, 0x200, v8
	s_xor_b32 s7, s7, -1
	v_add_nc_u32_e32 v7, 0x800, v7
	s_and_b32 s7, exec_lo, s7
	s_or_b32 s8, s7, s8
	s_waitcnt lgkmcnt(0)
	v_add_nc_u32_e32 v4, v5, v4
	s_andn2_b32 exec_lo, exec_lo, s8
	s_cbranch_execz .LBB33_50
.LBB33_23:                              ; =>This Inner Loop Header: Depth=1
	ds_read_b32 v5, v7
	s_waitcnt lgkmcnt(0)
	s_barrier
	buffer_gl0_inv
	v_cmp_gt_i32_e64 s7, s30, v5
	v_and_b32_e32 v6, s7, v2
	s_bcnt1_i32_b32 s9, s7
	v_mov_b32_e32 v9, s9
	v_bcnt_u32_b32 v6, v6, 0
	ds_write_b32 v3, v9 offset:4096
	s_waitcnt lgkmcnt(0)
	s_barrier
	buffer_gl0_inv
	s_and_saveexec_b32 s9, s0
	s_cbranch_execnz .LBB33_32
; %bb.24:                               ;   in Loop: Header=BB33_23 Depth=1
	s_or_b32 exec_lo, exec_lo, s9
	s_and_saveexec_b32 s9, s1
	s_cbranch_execnz .LBB33_33
.LBB33_25:                              ;   in Loop: Header=BB33_23 Depth=1
	s_or_b32 exec_lo, exec_lo, s9
	s_and_saveexec_b32 s9, s2
	s_cbranch_execnz .LBB33_34
.LBB33_26:                              ;   in Loop: Header=BB33_23 Depth=1
	s_or_b32 exec_lo, exec_lo, s9
	s_and_saveexec_b32 s9, s3
	s_cbranch_execnz .LBB33_35
.LBB33_27:                              ;   in Loop: Header=BB33_23 Depth=1
	s_or_b32 exec_lo, exec_lo, s9
	s_and_saveexec_b32 s9, s4
	s_cbranch_execnz .LBB33_36
.LBB33_28:                              ;   in Loop: Header=BB33_23 Depth=1
	s_or_b32 exec_lo, exec_lo, s9
	s_and_saveexec_b32 s9, s5
	s_cbranch_execnz .LBB33_37
.LBB33_29:                              ;   in Loop: Header=BB33_23 Depth=1
	s_or_b32 exec_lo, exec_lo, s9
	s_and_saveexec_b32 s9, s6
	s_cbranch_execnz .LBB33_38
.LBB33_30:                              ;   in Loop: Header=BB33_23 Depth=1
	s_or_b32 exec_lo, exec_lo, s9
	s_and_saveexec_b32 s9, s7
	s_cbranch_execnz .LBB33_39
.LBB33_31:                              ;   in Loop: Header=BB33_23 Depth=1
	s_or_b32 exec_lo, exec_lo, s9
	s_and_saveexec_b32 s7, vcc_lo
	s_cbranch_execz .LBB33_22
	s_branch .LBB33_40
.LBB33_32:                              ;   in Loop: Header=BB33_23 Depth=1
	ds_read_b32 v9, v1 offset:4096
	s_waitcnt lgkmcnt(0)
	v_add_nc_u32_e32 v6, v9, v6
	s_or_b32 exec_lo, exec_lo, s9
	s_and_saveexec_b32 s9, s1
	s_cbranch_execz .LBB33_25
.LBB33_33:                              ;   in Loop: Header=BB33_23 Depth=1
	ds_read_b32 v9, v1 offset:4100
	s_waitcnt lgkmcnt(0)
	v_add_nc_u32_e32 v6, v9, v6
	s_or_b32 exec_lo, exec_lo, s9
	s_and_saveexec_b32 s9, s2
	s_cbranch_execz .LBB33_26
.LBB33_34:                              ;   in Loop: Header=BB33_23 Depth=1
	ds_read_b32 v9, v1 offset:4104
	s_waitcnt lgkmcnt(0)
	v_add_nc_u32_e32 v6, v9, v6
	s_or_b32 exec_lo, exec_lo, s9
	s_and_saveexec_b32 s9, s3
	s_cbranch_execz .LBB33_27
.LBB33_35:                              ;   in Loop: Header=BB33_23 Depth=1
	ds_read_b32 v9, v1 offset:4108
	s_waitcnt lgkmcnt(0)
	v_add_nc_u32_e32 v6, v9, v6
	s_or_b32 exec_lo, exec_lo, s9
	s_and_saveexec_b32 s9, s4
	s_cbranch_execz .LBB33_28
.LBB33_36:                              ;   in Loop: Header=BB33_23 Depth=1
	ds_read_b32 v9, v1 offset:4112
	s_waitcnt lgkmcnt(0)
	v_add_nc_u32_e32 v6, v9, v6
	s_or_b32 exec_lo, exec_lo, s9
	s_and_saveexec_b32 s9, s5
	s_cbranch_execz .LBB33_29
.LBB33_37:                              ;   in Loop: Header=BB33_23 Depth=1
	ds_read_b32 v9, v1 offset:4116
	s_waitcnt lgkmcnt(0)
	v_add_nc_u32_e32 v6, v9, v6
	s_or_b32 exec_lo, exec_lo, s9
	s_and_saveexec_b32 s9, s6
	s_cbranch_execz .LBB33_30
.LBB33_38:                              ;   in Loop: Header=BB33_23 Depth=1
	ds_read_b32 v9, v1 offset:4120
	s_waitcnt lgkmcnt(0)
	v_add_nc_u32_e32 v6, v9, v6
	s_or_b32 exec_lo, exec_lo, s9
	s_and_saveexec_b32 s9, s7
	s_cbranch_execz .LBB33_31
.LBB33_39:                              ;   in Loop: Header=BB33_23 Depth=1
	v_lshlrev_b32_e32 v9, 2, v4
	v_lshlrev_b32_e32 v10, 2, v6
	v_add_nc_u32_e32 v9, 0, v9
	v_add3_u32 v9, v9, v10, -4
	ds_write_b32 v9, v5
	s_or_b32 exec_lo, exec_lo, s9
	s_and_saveexec_b32 s7, vcc_lo
	s_cbranch_execz .LBB33_22
.LBB33_40:                              ;   in Loop: Header=BB33_23 Depth=1
	ds_write_b32 v1, v6 offset:4124
	s_branch .LBB33_22
.LBB33_41:                              ;   in Loop: Header=BB33_42 Depth=1
	s_inst_prefetch 0x2
	s_or_b32 exec_lo, exec_lo, s4
	v_add_co_u32 v1, vcc_lo, 0x200, v1
	v_add_co_ci_u32_e64 v2, null, 0, v2, vcc_lo
	v_cmp_le_i64_e32 vcc_lo, s[0:1], v[1:2]
	s_or_b32 s3, vcc_lo, s3
	s_andn2_b32 exec_lo, exec_lo, s3
	s_cbranch_execz .LBB33_20
.LBB33_42:                              ; =>This Loop Header: Depth=1
                                        ;     Child Loop BB33_45 Depth 2
	v_lshlrev_b64 v[3:4], 2, v[1:2]
	s_mov_b32 s4, 0
                                        ; implicit-def: $sgpr5
	v_add_co_u32 v3, vcc_lo, s14, v3
	v_add_co_ci_u32_e64 v4, null, s15, v4, vcc_lo
	global_load_dword v3, v[3:4], off
	s_waitcnt vmcnt(0)
	v_subrev_nc_u32_e32 v3, s19, v3
	v_mul_lo_u32 v4, 0x89, v3
	v_and_b32_e32 v4, 0x3ff, v4
	s_inst_prefetch 0x1
	s_branch .LBB33_45
	.p2align	6
.LBB33_43:                              ;   in Loop: Header=BB33_45 Depth=2
	s_or_b32 exec_lo, exec_lo, s7
	s_andn2_b32 s5, s5, exec_lo
	s_and_b32 s7, s8, exec_lo
	s_or_b32 s5, s5, s7
.LBB33_44:                              ;   in Loop: Header=BB33_45 Depth=2
	s_or_b32 exec_lo, exec_lo, s6
	s_xor_b32 s6, s5, -1
	s_and_b32 s6, exec_lo, s6
	s_or_b32 s4, s6, s4
	s_andn2_b32 exec_lo, exec_lo, s4
	s_cbranch_execz .LBB33_41
.LBB33_45:                              ;   Parent Loop BB33_42 Depth=1
                                        ; =>  This Inner Loop Header: Depth=2
	v_lshl_add_u32 v5, v4, 2, 0
	s_andn2_b32 s5, s5, exec_lo
	s_mov_b32 s6, exec_lo
	ds_read_b32 v6, v5
	s_waitcnt lgkmcnt(0)
	v_cmpx_ne_u32_e64 v6, v3
	s_cbranch_execz .LBB33_44
; %bb.46:                               ;   in Loop: Header=BB33_45 Depth=2
	s_mov_b32 s7, exec_lo
	v_cmpx_ne_u32_e64 s30, v6
	s_xor_b32 s7, exec_lo, s7
; %bb.47:                               ;   in Loop: Header=BB33_45 Depth=2
	v_add_nc_u32_e32 v4, 1, v4
                                        ; implicit-def: $vgpr5
	v_and_b32_e32 v4, 0x3ff, v4
; %bb.48:                               ;   in Loop: Header=BB33_45 Depth=2
	s_or_saveexec_b32 s7, s7
	s_mov_b32 s8, -1
	s_xor_b32 exec_lo, exec_lo, s7
	s_cbranch_execz .LBB33_43
; %bb.49:                               ;   in Loop: Header=BB33_45 Depth=2
	v_mov_b32_e32 v6, s30
	ds_cmpst_rtn_b32 v5, v5, v6, v3
	s_waitcnt lgkmcnt(0)
	v_cmp_ne_u32_e32 vcc_lo, s30, v5
	s_orn2_b32 s8, vcc_lo, exec_lo
	s_branch .LBB33_43
.LBB33_50:
	s_or_b32 exec_lo, exec_lo, s8
	s_ashr_i32 s29, s28, 31
	s_mov_b32 s4, exec_lo
	s_lshl_b64 s[0:1], s[28:29], 3
	s_add_u32 s0, s24, s0
	s_addc_u32 s1, s25, s1
	s_load_dwordx4 s[0:3], s[0:1], 0x0
	s_waitcnt lgkmcnt(0)
	s_sub_i32 s3, s2, s0
	v_cmpx_gt_i32_e64 s3, v0
	s_cbranch_execz .LBB33_60
; %bb.51:
	s_sub_u32 s4, s0, s18
	s_subb_u32 s5, s1, 0
	s_sub_i32 s0, s0, s2
	s_and_b32 s1, s3, 7
	s_cmp_lt_u32 s0, -7
	s_mov_b32 s8, 0
	s_cselect_b32 s2, -1, 0
	s_and_b32 s6, s3, -8
	s_cmp_lg_u32 s1, 0
	s_cselect_b32 s7, -1, 0
	s_branch .LBB33_53
.LBB33_52:                              ;   in Loop: Header=BB33_53 Depth=1
	v_lshlrev_b64 v[1:2], 2, v[1:2]
	v_add_nc_u32_e32 v0, 0x200, v0
	s_waitcnt lgkmcnt(0)
	v_add_nc_u32_e32 v3, s18, v3
	v_cmp_le_i32_e32 vcc_lo, s3, v0
	v_add_co_u32 v1, s0, s26, v1
	v_add_co_ci_u32_e64 v2, null, s27, v2, s0
	s_or_b32 s8, vcc_lo, s8
	global_store_dword v[1:2], v3, off
	s_andn2_b32 exec_lo, exec_lo, s8
	s_cbranch_execz .LBB33_60
.LBB33_53:                              ; =>This Loop Header: Depth=1
                                        ;     Child Loop BB33_55 Depth 2
                                        ;     Child Loop BB33_59 Depth 2
	v_lshl_add_u32 v1, v0, 2, 0
	s_andn2_b32 vcc_lo, exec_lo, s2
	s_mov_b32 s0, 0
	ds_read_b32 v3, v1
	v_mov_b32_e32 v1, s4
	v_mov_b32_e32 v2, s5
	s_cbranch_vccnz .LBB33_57
; %bb.54:                               ;   in Loop: Header=BB33_53 Depth=1
	v_mov_b32_e32 v1, s4
	v_mov_b32_e32 v2, s5
	s_mov_b32 s9, 0
	s_mov_b32 s10, 0
.LBB33_55:                              ;   Parent Loop BB33_53 Depth=1
                                        ; =>  This Inner Loop Header: Depth=2
	v_mov_b32_e32 v10, s10
	s_add_i32 s9, s9, 8
	s_add_i32 s10, s10, 32
	s_cmp_eq_u32 s6, s9
	ds_read2_b32 v[4:5], v10 offset1:1
	ds_read2_b32 v[6:7], v10 offset0:2 offset1:3
	ds_read2_b32 v[8:9], v10 offset0:4 offset1:5
	;; [unrolled: 1-line block ×3, first 2 shown]
	s_waitcnt lgkmcnt(3)
	v_cmp_gt_i32_e32 vcc_lo, v3, v4
	v_cndmask_b32_e64 v4, 0, 1, vcc_lo
	v_cmp_gt_i32_e32 vcc_lo, v3, v5
	v_cndmask_b32_e64 v5, 0, 1, vcc_lo
	s_waitcnt lgkmcnt(2)
	v_cmp_gt_i32_e32 vcc_lo, v3, v6
	v_cndmask_b32_e64 v6, 0, 1, vcc_lo
	v_cmp_gt_i32_e32 vcc_lo, v3, v7
	v_cndmask_b32_e64 v7, 0, 1, vcc_lo
	s_waitcnt lgkmcnt(1)
	v_cmp_gt_i32_e32 vcc_lo, v3, v8
	v_cndmask_b32_e64 v8, 0, 1, vcc_lo
	v_add_co_u32 v1, vcc_lo, v1, v4
	v_add_co_ci_u32_e64 v2, null, 0, v2, vcc_lo
	v_cmp_gt_i32_e32 vcc_lo, v3, v9
	v_add_co_u32 v1, s0, v1, v5
	v_add_co_ci_u32_e64 v2, null, 0, v2, s0
	v_cndmask_b32_e64 v4, 0, 1, vcc_lo
	v_add_co_u32 v1, vcc_lo, v1, v6
	v_add_co_ci_u32_e64 v2, null, 0, v2, vcc_lo
	s_waitcnt lgkmcnt(0)
	v_cmp_gt_i32_e32 vcc_lo, v3, v10
	v_add_co_u32 v1, s0, v1, v7
	v_add_co_ci_u32_e64 v2, null, 0, v2, s0
	v_cndmask_b32_e64 v5, 0, 1, vcc_lo
	v_add_co_u32 v1, vcc_lo, v1, v8
	v_add_co_ci_u32_e64 v2, null, 0, v2, vcc_lo
	v_cmp_gt_i32_e32 vcc_lo, v3, v11
	v_add_co_u32 v1, s0, v1, v4
	v_add_co_ci_u32_e64 v2, null, 0, v2, s0
	v_cndmask_b32_e64 v4, 0, 1, vcc_lo
	v_add_co_u32 v1, vcc_lo, v1, v5
	v_add_co_ci_u32_e64 v2, null, 0, v2, vcc_lo
	v_add_co_u32 v1, vcc_lo, v1, v4
	v_add_co_ci_u32_e64 v2, null, 0, v2, vcc_lo
	s_cbranch_scc0 .LBB33_55
; %bb.56:                               ;   in Loop: Header=BB33_53 Depth=1
	s_mov_b32 s0, s6
.LBB33_57:                              ;   in Loop: Header=BB33_53 Depth=1
	s_andn2_b32 vcc_lo, exec_lo, s7
	s_cbranch_vccnz .LBB33_52
; %bb.58:                               ;   in Loop: Header=BB33_53 Depth=1
	s_lshl_b32 s0, s0, 2
	s_mov_b32 s9, s1
	s_add_i32 s0, s0, 0
.LBB33_59:                              ;   Parent Loop BB33_53 Depth=1
                                        ; =>  This Inner Loop Header: Depth=2
	v_mov_b32_e32 v4, s0
	s_add_i32 s9, s9, -1
	s_add_i32 s0, s0, 4
	s_cmp_lg_u32 s9, 0
	ds_read_b32 v4, v4
	s_waitcnt lgkmcnt(0)
	v_cmp_gt_i32_e32 vcc_lo, v3, v4
	v_cndmask_b32_e64 v4, 0, 1, vcc_lo
	v_add_co_u32 v1, vcc_lo, v1, v4
	v_add_co_ci_u32_e64 v2, null, 0, v2, vcc_lo
	s_cbranch_scc1 .LBB33_59
	s_branch .LBB33_52
.LBB33_60:
	s_endpgm
	.section	.rodata,"a",@progbits
	.p2align	6, 0x0
	.amdhsa_kernel _ZN9rocsparseL35csrgemm_symbolic_fill_block_per_rowILj512ELj32ELj1024ELj137ELj64EliEEvT5_PKS1_S3_PKT4_S3_S6_S3_S6_S3_S6_PS1_21rocsparse_index_base_S8_S8_S8_bb
		.amdhsa_group_segment_fixed_size 0
		.amdhsa_private_segment_fixed_size 0
		.amdhsa_kernarg_size 108
		.amdhsa_user_sgpr_count 6
		.amdhsa_user_sgpr_private_segment_buffer 1
		.amdhsa_user_sgpr_dispatch_ptr 0
		.amdhsa_user_sgpr_queue_ptr 0
		.amdhsa_user_sgpr_kernarg_segment_ptr 1
		.amdhsa_user_sgpr_dispatch_id 0
		.amdhsa_user_sgpr_flat_scratch_init 0
		.amdhsa_user_sgpr_private_segment_size 0
		.amdhsa_wavefront_size32 1
		.amdhsa_uses_dynamic_stack 0
		.amdhsa_system_sgpr_private_segment_wavefront_offset 0
		.amdhsa_system_sgpr_workgroup_id_x 1
		.amdhsa_system_sgpr_workgroup_id_y 0
		.amdhsa_system_sgpr_workgroup_id_z 0
		.amdhsa_system_sgpr_workgroup_info 0
		.amdhsa_system_vgpr_workitem_id 0
		.amdhsa_next_free_vgpr 15
		.amdhsa_next_free_sgpr 34
		.amdhsa_reserve_vcc 1
		.amdhsa_reserve_flat_scratch 0
		.amdhsa_float_round_mode_32 0
		.amdhsa_float_round_mode_16_64 0
		.amdhsa_float_denorm_mode_32 3
		.amdhsa_float_denorm_mode_16_64 3
		.amdhsa_dx10_clamp 1
		.amdhsa_ieee_mode 1
		.amdhsa_fp16_overflow 0
		.amdhsa_workgroup_processor_mode 1
		.amdhsa_memory_ordered 1
		.amdhsa_forward_progress 1
		.amdhsa_shared_vgpr_count 0
		.amdhsa_exception_fp_ieee_invalid_op 0
		.amdhsa_exception_fp_denorm_src 0
		.amdhsa_exception_fp_ieee_div_zero 0
		.amdhsa_exception_fp_ieee_overflow 0
		.amdhsa_exception_fp_ieee_underflow 0
		.amdhsa_exception_fp_ieee_inexact 0
		.amdhsa_exception_int_div_zero 0
	.end_amdhsa_kernel
	.section	.text._ZN9rocsparseL35csrgemm_symbolic_fill_block_per_rowILj512ELj32ELj1024ELj137ELj64EliEEvT5_PKS1_S3_PKT4_S3_S6_S3_S6_S3_S6_PS1_21rocsparse_index_base_S8_S8_S8_bb,"axG",@progbits,_ZN9rocsparseL35csrgemm_symbolic_fill_block_per_rowILj512ELj32ELj1024ELj137ELj64EliEEvT5_PKS1_S3_PKT4_S3_S6_S3_S6_S3_S6_PS1_21rocsparse_index_base_S8_S8_S8_bb,comdat
.Lfunc_end33:
	.size	_ZN9rocsparseL35csrgemm_symbolic_fill_block_per_rowILj512ELj32ELj1024ELj137ELj64EliEEvT5_PKS1_S3_PKT4_S3_S6_S3_S6_S3_S6_PS1_21rocsparse_index_base_S8_S8_S8_bb, .Lfunc_end33-_ZN9rocsparseL35csrgemm_symbolic_fill_block_per_rowILj512ELj32ELj1024ELj137ELj64EliEEvT5_PKS1_S3_PKT4_S3_S6_S3_S6_S3_S6_PS1_21rocsparse_index_base_S8_S8_S8_bb
                                        ; -- End function
	.set _ZN9rocsparseL35csrgemm_symbolic_fill_block_per_rowILj512ELj32ELj1024ELj137ELj64EliEEvT5_PKS1_S3_PKT4_S3_S6_S3_S6_S3_S6_PS1_21rocsparse_index_base_S8_S8_S8_bb.num_vgpr, 15
	.set _ZN9rocsparseL35csrgemm_symbolic_fill_block_per_rowILj512ELj32ELj1024ELj137ELj64EliEEvT5_PKS1_S3_PKT4_S3_S6_S3_S6_S3_S6_PS1_21rocsparse_index_base_S8_S8_S8_bb.num_agpr, 0
	.set _ZN9rocsparseL35csrgemm_symbolic_fill_block_per_rowILj512ELj32ELj1024ELj137ELj64EliEEvT5_PKS1_S3_PKT4_S3_S6_S3_S6_S3_S6_PS1_21rocsparse_index_base_S8_S8_S8_bb.numbered_sgpr, 34
	.set _ZN9rocsparseL35csrgemm_symbolic_fill_block_per_rowILj512ELj32ELj1024ELj137ELj64EliEEvT5_PKS1_S3_PKT4_S3_S6_S3_S6_S3_S6_PS1_21rocsparse_index_base_S8_S8_S8_bb.num_named_barrier, 0
	.set _ZN9rocsparseL35csrgemm_symbolic_fill_block_per_rowILj512ELj32ELj1024ELj137ELj64EliEEvT5_PKS1_S3_PKT4_S3_S6_S3_S6_S3_S6_PS1_21rocsparse_index_base_S8_S8_S8_bb.private_seg_size, 0
	.set _ZN9rocsparseL35csrgemm_symbolic_fill_block_per_rowILj512ELj32ELj1024ELj137ELj64EliEEvT5_PKS1_S3_PKT4_S3_S6_S3_S6_S3_S6_PS1_21rocsparse_index_base_S8_S8_S8_bb.uses_vcc, 1
	.set _ZN9rocsparseL35csrgemm_symbolic_fill_block_per_rowILj512ELj32ELj1024ELj137ELj64EliEEvT5_PKS1_S3_PKT4_S3_S6_S3_S6_S3_S6_PS1_21rocsparse_index_base_S8_S8_S8_bb.uses_flat_scratch, 0
	.set _ZN9rocsparseL35csrgemm_symbolic_fill_block_per_rowILj512ELj32ELj1024ELj137ELj64EliEEvT5_PKS1_S3_PKT4_S3_S6_S3_S6_S3_S6_PS1_21rocsparse_index_base_S8_S8_S8_bb.has_dyn_sized_stack, 0
	.set _ZN9rocsparseL35csrgemm_symbolic_fill_block_per_rowILj512ELj32ELj1024ELj137ELj64EliEEvT5_PKS1_S3_PKT4_S3_S6_S3_S6_S3_S6_PS1_21rocsparse_index_base_S8_S8_S8_bb.has_recursion, 0
	.set _ZN9rocsparseL35csrgemm_symbolic_fill_block_per_rowILj512ELj32ELj1024ELj137ELj64EliEEvT5_PKS1_S3_PKT4_S3_S6_S3_S6_S3_S6_PS1_21rocsparse_index_base_S8_S8_S8_bb.has_indirect_call, 0
	.section	.AMDGPU.csdata,"",@progbits
; Kernel info:
; codeLenInByte = 2476
; TotalNumSgprs: 36
; NumVgprs: 15
; ScratchSize: 0
; MemoryBound: 0
; FloatMode: 240
; IeeeMode: 1
; LDSByteSize: 0 bytes/workgroup (compile time only)
; SGPRBlocks: 0
; VGPRBlocks: 1
; NumSGPRsForWavesPerEU: 36
; NumVGPRsForWavesPerEU: 15
; Occupancy: 16
; WaveLimiterHint : 1
; COMPUTE_PGM_RSRC2:SCRATCH_EN: 0
; COMPUTE_PGM_RSRC2:USER_SGPR: 6
; COMPUTE_PGM_RSRC2:TRAP_HANDLER: 0
; COMPUTE_PGM_RSRC2:TGID_X_EN: 1
; COMPUTE_PGM_RSRC2:TGID_Y_EN: 0
; COMPUTE_PGM_RSRC2:TGID_Z_EN: 0
; COMPUTE_PGM_RSRC2:TIDIG_COMP_CNT: 0
	.section	.text._ZN9rocsparseL35csrgemm_symbolic_fill_block_per_rowILj1024ELj32ELj2048ELj137ELj32EliEEvT5_PKS1_S3_PKT4_S3_S6_S3_S6_S3_S6_PS1_21rocsparse_index_base_S8_S8_S8_bb,"axG",@progbits,_ZN9rocsparseL35csrgemm_symbolic_fill_block_per_rowILj1024ELj32ELj2048ELj137ELj32EliEEvT5_PKS1_S3_PKT4_S3_S6_S3_S6_S3_S6_PS1_21rocsparse_index_base_S8_S8_S8_bb,comdat
	.globl	_ZN9rocsparseL35csrgemm_symbolic_fill_block_per_rowILj1024ELj32ELj2048ELj137ELj32EliEEvT5_PKS1_S3_PKT4_S3_S6_S3_S6_S3_S6_PS1_21rocsparse_index_base_S8_S8_S8_bb ; -- Begin function _ZN9rocsparseL35csrgemm_symbolic_fill_block_per_rowILj1024ELj32ELj2048ELj137ELj32EliEEvT5_PKS1_S3_PKT4_S3_S6_S3_S6_S3_S6_PS1_21rocsparse_index_base_S8_S8_S8_bb
	.p2align	8
	.type	_ZN9rocsparseL35csrgemm_symbolic_fill_block_per_rowILj1024ELj32ELj2048ELj137ELj32EliEEvT5_PKS1_S3_PKT4_S3_S6_S3_S6_S3_S6_PS1_21rocsparse_index_base_S8_S8_S8_bb,@function
_ZN9rocsparseL35csrgemm_symbolic_fill_block_per_rowILj1024ELj32ELj2048ELj137ELj32EliEEvT5_PKS1_S3_PKT4_S3_S6_S3_S6_S3_S6_PS1_21rocsparse_index_base_S8_S8_S8_bb: ; @_ZN9rocsparseL35csrgemm_symbolic_fill_block_per_rowILj1024ELj32ELj2048ELj137ELj32EliEEvT5_PKS1_S3_PKT4_S3_S6_S3_S6_S3_S6_PS1_21rocsparse_index_base_S8_S8_S8_bb
; %bb.0:
	s_clause 0x3
	s_load_dword s33, s[4:5], 0x0
	s_load_dwordx4 s[36:39], s[4:5], 0x48
	s_load_dwordx8 s[8:15], s[4:5], 0x28
	s_load_dwordx8 s[16:23], s[4:5], 0x8
	v_lshl_add_u32 v7, v0, 2, 0
	v_or_b32_e32 v8, 0xfffffc00, v0
	s_mov_b32 s0, 0
	v_mov_b32_e32 v1, v7
	v_mov_b32_e32 v3, v8
	s_waitcnt lgkmcnt(0)
	v_mov_b32_e32 v2, s33
.LBB34_1:                               ; =>This Inner Loop Header: Depth=1
	v_add_co_u32 v3, s1, 0x400, v3
	s_xor_b32 s1, s1, -1
	ds_write_b32 v1, v2
	v_add_nc_u32_e32 v1, 0x1000, v1
	s_and_b32 s1, exec_lo, s1
	s_or_b32 s0, s1, s0
	s_andn2_b32 exec_lo, exec_lo, s0
	s_cbranch_execnz .LBB34_1
; %bb.2:
	s_or_b32 exec_lo, exec_lo, s0
	s_load_dword s2, s[4:5], 0x68
	s_waitcnt lgkmcnt(0)
	s_barrier
	buffer_gl0_inv
	s_load_dword s0, s[16:17], 0x0
	s_mov_b32 s1, 0
	v_lshrrev_b32_e32 v9, 5, v0
	s_bitcmp1_b32 s2, 0
	s_cselect_b32 s3, -1, 0
	s_waitcnt lgkmcnt(0)
	s_add_i32 s0, s0, s6
	s_lshl_b64 s[0:1], s[0:1], 2
	s_add_u32 s0, s18, s0
	s_addc_u32 s1, s19, s1
	s_load_dwordx4 s[40:43], s[4:5], 0x58
	s_load_dword s34, s[0:1], 0x0
	s_and_b32 vcc_lo, exec_lo, s3
	s_cbranch_vccz .LBB34_18
; %bb.3:
	s_waitcnt lgkmcnt(0)
	s_ashr_i32 s35, s34, 31
	s_mov_b32 s3, exec_lo
	s_lshl_b64 s[0:1], s[34:35], 3
	s_add_u32 s0, s20, s0
	s_addc_u32 s1, s21, s1
	s_load_dwordx4 s[4:7], s[0:1], 0x0
	v_sub_co_u32 v1, s0, v9, s40
	v_sub_co_ci_u32_e64 v2, null, 0, 0, s0
	s_waitcnt lgkmcnt(0)
	v_add_co_u32 v1, vcc_lo, s4, v1
	v_add_co_ci_u32_e64 v2, null, s5, v2, vcc_lo
	s_sub_u32 s0, s6, s40
	s_subb_u32 s1, s7, 0
	v_cmpx_gt_i64_e64 s[0:1], v[1:2]
	s_cbranch_execz .LBB34_17
; %bb.4:
	v_and_b32_e32 v3, 31, v0
	s_mov_b32 s5, s41
	v_sub_co_u32 v10, s4, v3, s41
	v_sub_co_ci_u32_e64 v11, null, 0, 0, s4
	s_mov_b32 s4, 0
	s_branch .LBB34_6
.LBB34_5:                               ;   in Loop: Header=BB34_6 Depth=1
	s_or_b32 exec_lo, exec_lo, s6
	v_add_co_u32 v1, vcc_lo, v1, 32
	v_add_co_ci_u32_e64 v2, null, 0, v2, vcc_lo
	v_cmp_le_i64_e32 vcc_lo, s[0:1], v[1:2]
	s_or_b32 s4, vcc_lo, s4
	s_andn2_b32 exec_lo, exec_lo, s4
	s_cbranch_execz .LBB34_17
.LBB34_6:                               ; =>This Loop Header: Depth=1
                                        ;     Child Loop BB34_9 Depth 2
                                        ;       Child Loop BB34_12 Depth 3
	v_lshlrev_b64 v[3:4], 2, v[1:2]
	s_mov_b32 s6, exec_lo
	v_add_co_u32 v3, vcc_lo, s22, v3
	v_add_co_ci_u32_e64 v4, null, s23, v4, vcc_lo
	global_load_dword v3, v[3:4], off
	s_waitcnt vmcnt(0)
	v_subrev_nc_u32_e32 v3, s40, v3
	v_ashrrev_i32_e32 v4, 31, v3
	v_lshlrev_b64 v[3:4], 3, v[3:4]
	v_add_co_u32 v3, vcc_lo, s8, v3
	v_add_co_ci_u32_e64 v4, null, s9, v4, vcc_lo
	global_load_dwordx4 v[12:15], v[3:4], off
	s_waitcnt vmcnt(0)
	v_sub_co_u32 v3, vcc_lo, v14, s5
	v_subrev_co_ci_u32_e64 v4, null, 0, v15, vcc_lo
	v_add_co_u32 v5, vcc_lo, v12, v10
	v_add_co_ci_u32_e64 v6, null, v13, v11, vcc_lo
	v_cmpx_lt_i64_e64 v[5:6], v[3:4]
	s_cbranch_execz .LBB34_5
; %bb.7:                                ;   in Loop: Header=BB34_6 Depth=1
	s_mov_b32 s7, 0
	s_branch .LBB34_9
.LBB34_8:                               ;   in Loop: Header=BB34_9 Depth=2
	s_inst_prefetch 0x2
	s_or_b32 exec_lo, exec_lo, s16
	v_add_co_u32 v5, vcc_lo, v5, 32
	v_add_co_ci_u32_e64 v6, null, 0, v6, vcc_lo
	v_cmp_ge_i64_e32 vcc_lo, v[5:6], v[3:4]
	s_or_b32 s7, vcc_lo, s7
	s_andn2_b32 exec_lo, exec_lo, s7
	s_cbranch_execz .LBB34_5
.LBB34_9:                               ;   Parent Loop BB34_6 Depth=1
                                        ; =>  This Loop Header: Depth=2
                                        ;       Child Loop BB34_12 Depth 3
	v_lshlrev_b64 v[12:13], 2, v[5:6]
	s_mov_b32 s16, 0
                                        ; implicit-def: $sgpr17
	v_add_co_u32 v12, vcc_lo, s10, v12
	v_add_co_ci_u32_e64 v13, null, s11, v13, vcc_lo
	global_load_dword v12, v[12:13], off
	s_waitcnt vmcnt(0)
	v_subrev_nc_u32_e32 v12, s41, v12
	v_mul_lo_u32 v13, 0x89, v12
	v_and_b32_e32 v13, 0x7ff, v13
	s_inst_prefetch 0x1
	s_branch .LBB34_12
	.p2align	6
.LBB34_10:                              ;   in Loop: Header=BB34_12 Depth=3
	s_or_b32 exec_lo, exec_lo, s19
	s_andn2_b32 s17, s17, exec_lo
	s_and_b32 s19, s20, exec_lo
	s_or_b32 s17, s17, s19
.LBB34_11:                              ;   in Loop: Header=BB34_12 Depth=3
	s_or_b32 exec_lo, exec_lo, s18
	s_xor_b32 s18, s17, -1
	s_and_b32 s18, exec_lo, s18
	s_or_b32 s16, s18, s16
	s_andn2_b32 exec_lo, exec_lo, s16
	s_cbranch_execz .LBB34_8
.LBB34_12:                              ;   Parent Loop BB34_6 Depth=1
                                        ;     Parent Loop BB34_9 Depth=2
                                        ; =>    This Inner Loop Header: Depth=3
	v_lshl_add_u32 v14, v13, 2, 0
	s_andn2_b32 s17, s17, exec_lo
	s_mov_b32 s18, exec_lo
	ds_read_b32 v15, v14
	s_waitcnt lgkmcnt(0)
	v_cmpx_ne_u32_e64 v15, v12
	s_cbranch_execz .LBB34_11
; %bb.13:                               ;   in Loop: Header=BB34_12 Depth=3
	s_mov_b32 s19, exec_lo
	v_cmpx_ne_u32_e64 s33, v15
	s_xor_b32 s19, exec_lo, s19
; %bb.14:                               ;   in Loop: Header=BB34_12 Depth=3
	v_add_nc_u32_e32 v13, 1, v13
                                        ; implicit-def: $vgpr14
	v_and_b32_e32 v13, 0x7ff, v13
; %bb.15:                               ;   in Loop: Header=BB34_12 Depth=3
	s_or_saveexec_b32 s19, s19
	s_mov_b32 s20, -1
	s_xor_b32 exec_lo, exec_lo, s19
	s_cbranch_execz .LBB34_10
; %bb.16:                               ;   in Loop: Header=BB34_12 Depth=3
	v_mov_b32_e32 v15, s33
	ds_cmpst_rtn_b32 v14, v14, v15, v12
	s_waitcnt lgkmcnt(0)
	v_cmp_ne_u32_e32 vcc_lo, s33, v14
	s_orn2_b32 s20, vcc_lo, exec_lo
	s_branch .LBB34_10
.LBB34_17:
	s_or_b32 exec_lo, exec_lo, s3
.LBB34_18:
	s_bfe_u32 s0, s2, 0x10008
	s_cmp_eq_u32 s0, 0
	s_cbranch_scc1 .LBB34_21
; %bb.19:
	s_waitcnt lgkmcnt(0)
	s_ashr_i32 s35, s34, 31
	v_sub_co_u32 v1, s4, v0, s43
	s_lshl_b64 s[0:1], s[34:35], 3
	v_sub_co_ci_u32_e64 v2, null, 0, 0, s4
	s_add_u32 s0, s12, s0
	s_addc_u32 s1, s13, s1
	s_load_dwordx4 s[0:3], s[0:1], 0x0
	s_waitcnt lgkmcnt(0)
	v_add_co_u32 v1, vcc_lo, s0, v1
	v_add_co_ci_u32_e64 v2, null, s1, v2, vcc_lo
	s_sub_u32 s0, s2, s43
	s_subb_u32 s1, s3, 0
	s_mov_b32 s3, 0
	s_mov_b32 s2, exec_lo
	v_cmpx_gt_i64_e64 s[0:1], v[1:2]
	s_cbranch_execnz .LBB34_90
.LBB34_20:
	s_or_b32 exec_lo, exec_lo, s2
.LBB34_21:
	v_mbcnt_lo_u32_b32 v3, -1, 0
	v_mov_b32_e32 v1, 0
	v_lshl_add_u32 v2, v9, 2, 0
	v_cmp_lt_u32_e64 s0, 31, v0
	v_cmp_lt_u32_e64 s1, 63, v0
	v_xor_b32_e32 v3, 31, v3
	v_cmp_lt_u32_e64 s2, 0x5f, v0
	v_cmp_lt_u32_e64 s3, 0x7f, v0
	;; [unrolled: 1-line block ×4, first 2 shown]
	v_lshrrev_b32_e64 v3, v3, -1
	v_cmp_lt_u32_e64 s6, 0xdf, v0
	v_cmp_lt_u32_e64 s7, 0xff, v0
	;; [unrolled: 1-line block ×25, first 2 shown]
	v_mov_b32_e32 v4, 0
	s_mov_b32 s35, 0
	v_cmp_eq_u32_e32 vcc_lo, 0x3ff, v0
	s_waitcnt lgkmcnt(0)
	s_barrier
	buffer_gl0_inv
	s_branch .LBB34_23
.LBB34_22:                              ;   in Loop: Header=BB34_23 Depth=1
	s_or_b32 exec_lo, exec_lo, s31
	s_waitcnt lgkmcnt(0)
	s_barrier
	buffer_gl0_inv
	ds_read_b32 v5, v1 offset:8316
	v_add_co_u32 v8, s31, 0x400, v8
	s_xor_b32 s31, s31, -1
	v_add_nc_u32_e32 v7, 0x1000, v7
	s_and_b32 s31, exec_lo, s31
	s_or_b32 s35, s31, s35
	s_waitcnt lgkmcnt(0)
	v_add_nc_u32_e32 v4, v5, v4
	s_andn2_b32 exec_lo, exec_lo, s35
	s_cbranch_execz .LBB34_98
.LBB34_23:                              ; =>This Inner Loop Header: Depth=1
	ds_read_b32 v5, v7
	s_waitcnt lgkmcnt(0)
	s_barrier
	buffer_gl0_inv
	v_cmp_gt_i32_e64 s31, s33, v5
	v_and_b32_e32 v6, s31, v3
	s_bcnt1_i32_b32 s40, s31
	v_mov_b32_e32 v9, s40
	v_bcnt_u32_b32 v6, v6, 0
	ds_write_b32 v2, v9 offset:8192
	s_waitcnt lgkmcnt(0)
	s_barrier
	buffer_gl0_inv
	s_and_saveexec_b32 s40, s0
	s_cbranch_execnz .LBB34_56
; %bb.24:                               ;   in Loop: Header=BB34_23 Depth=1
	s_or_b32 exec_lo, exec_lo, s40
	s_and_saveexec_b32 s40, s1
	s_cbranch_execnz .LBB34_57
.LBB34_25:                              ;   in Loop: Header=BB34_23 Depth=1
	s_or_b32 exec_lo, exec_lo, s40
	s_and_saveexec_b32 s40, s2
	s_cbranch_execnz .LBB34_58
.LBB34_26:                              ;   in Loop: Header=BB34_23 Depth=1
	s_or_b32 exec_lo, exec_lo, s40
	s_and_saveexec_b32 s40, s3
	s_cbranch_execnz .LBB34_59
.LBB34_27:                              ;   in Loop: Header=BB34_23 Depth=1
	s_or_b32 exec_lo, exec_lo, s40
	s_and_saveexec_b32 s40, s4
	s_cbranch_execnz .LBB34_60
.LBB34_28:                              ;   in Loop: Header=BB34_23 Depth=1
	s_or_b32 exec_lo, exec_lo, s40
	s_and_saveexec_b32 s40, s5
	s_cbranch_execnz .LBB34_61
.LBB34_29:                              ;   in Loop: Header=BB34_23 Depth=1
	s_or_b32 exec_lo, exec_lo, s40
	s_and_saveexec_b32 s40, s6
	s_cbranch_execnz .LBB34_62
.LBB34_30:                              ;   in Loop: Header=BB34_23 Depth=1
	s_or_b32 exec_lo, exec_lo, s40
	s_and_saveexec_b32 s40, s7
	s_cbranch_execnz .LBB34_63
.LBB34_31:                              ;   in Loop: Header=BB34_23 Depth=1
	s_or_b32 exec_lo, exec_lo, s40
	s_and_saveexec_b32 s40, s8
	s_cbranch_execnz .LBB34_64
.LBB34_32:                              ;   in Loop: Header=BB34_23 Depth=1
	s_or_b32 exec_lo, exec_lo, s40
	s_and_saveexec_b32 s40, s9
	s_cbranch_execnz .LBB34_65
.LBB34_33:                              ;   in Loop: Header=BB34_23 Depth=1
	s_or_b32 exec_lo, exec_lo, s40
	s_and_saveexec_b32 s40, s10
	s_cbranch_execnz .LBB34_66
.LBB34_34:                              ;   in Loop: Header=BB34_23 Depth=1
	s_or_b32 exec_lo, exec_lo, s40
	s_and_saveexec_b32 s40, s11
	s_cbranch_execnz .LBB34_67
.LBB34_35:                              ;   in Loop: Header=BB34_23 Depth=1
	s_or_b32 exec_lo, exec_lo, s40
	s_and_saveexec_b32 s40, s12
	s_cbranch_execnz .LBB34_68
.LBB34_36:                              ;   in Loop: Header=BB34_23 Depth=1
	s_or_b32 exec_lo, exec_lo, s40
	s_and_saveexec_b32 s40, s13
	s_cbranch_execnz .LBB34_69
.LBB34_37:                              ;   in Loop: Header=BB34_23 Depth=1
	s_or_b32 exec_lo, exec_lo, s40
	s_and_saveexec_b32 s40, s14
	s_cbranch_execnz .LBB34_70
.LBB34_38:                              ;   in Loop: Header=BB34_23 Depth=1
	s_or_b32 exec_lo, exec_lo, s40
	s_and_saveexec_b32 s40, s15
	s_cbranch_execnz .LBB34_71
.LBB34_39:                              ;   in Loop: Header=BB34_23 Depth=1
	s_or_b32 exec_lo, exec_lo, s40
	s_and_saveexec_b32 s40, s16
	s_cbranch_execnz .LBB34_72
.LBB34_40:                              ;   in Loop: Header=BB34_23 Depth=1
	s_or_b32 exec_lo, exec_lo, s40
	s_and_saveexec_b32 s40, s17
	s_cbranch_execnz .LBB34_73
.LBB34_41:                              ;   in Loop: Header=BB34_23 Depth=1
	s_or_b32 exec_lo, exec_lo, s40
	s_and_saveexec_b32 s40, s18
	s_cbranch_execnz .LBB34_74
.LBB34_42:                              ;   in Loop: Header=BB34_23 Depth=1
	s_or_b32 exec_lo, exec_lo, s40
	s_and_saveexec_b32 s40, s19
	s_cbranch_execnz .LBB34_75
.LBB34_43:                              ;   in Loop: Header=BB34_23 Depth=1
	s_or_b32 exec_lo, exec_lo, s40
	s_and_saveexec_b32 s40, s20
	s_cbranch_execnz .LBB34_76
.LBB34_44:                              ;   in Loop: Header=BB34_23 Depth=1
	s_or_b32 exec_lo, exec_lo, s40
	s_and_saveexec_b32 s40, s21
	s_cbranch_execnz .LBB34_77
.LBB34_45:                              ;   in Loop: Header=BB34_23 Depth=1
	s_or_b32 exec_lo, exec_lo, s40
	s_and_saveexec_b32 s40, s22
	s_cbranch_execnz .LBB34_78
.LBB34_46:                              ;   in Loop: Header=BB34_23 Depth=1
	s_or_b32 exec_lo, exec_lo, s40
	s_and_saveexec_b32 s40, s23
	s_cbranch_execnz .LBB34_79
.LBB34_47:                              ;   in Loop: Header=BB34_23 Depth=1
	s_or_b32 exec_lo, exec_lo, s40
	s_and_saveexec_b32 s40, s24
	s_cbranch_execnz .LBB34_80
.LBB34_48:                              ;   in Loop: Header=BB34_23 Depth=1
	s_or_b32 exec_lo, exec_lo, s40
	s_and_saveexec_b32 s40, s25
	s_cbranch_execnz .LBB34_81
.LBB34_49:                              ;   in Loop: Header=BB34_23 Depth=1
	s_or_b32 exec_lo, exec_lo, s40
	s_and_saveexec_b32 s40, s26
	s_cbranch_execnz .LBB34_82
.LBB34_50:                              ;   in Loop: Header=BB34_23 Depth=1
	s_or_b32 exec_lo, exec_lo, s40
	s_and_saveexec_b32 s40, s27
	s_cbranch_execnz .LBB34_83
.LBB34_51:                              ;   in Loop: Header=BB34_23 Depth=1
	s_or_b32 exec_lo, exec_lo, s40
	s_and_saveexec_b32 s40, s28
	s_cbranch_execnz .LBB34_84
.LBB34_52:                              ;   in Loop: Header=BB34_23 Depth=1
	s_or_b32 exec_lo, exec_lo, s40
	s_and_saveexec_b32 s40, s29
	s_cbranch_execnz .LBB34_85
.LBB34_53:                              ;   in Loop: Header=BB34_23 Depth=1
	s_or_b32 exec_lo, exec_lo, s40
	s_and_saveexec_b32 s40, s30
	s_cbranch_execnz .LBB34_86
.LBB34_54:                              ;   in Loop: Header=BB34_23 Depth=1
	s_or_b32 exec_lo, exec_lo, s40
	s_and_saveexec_b32 s40, s31
	s_cbranch_execnz .LBB34_87
.LBB34_55:                              ;   in Loop: Header=BB34_23 Depth=1
	s_or_b32 exec_lo, exec_lo, s40
	s_and_saveexec_b32 s31, vcc_lo
	s_cbranch_execz .LBB34_22
	s_branch .LBB34_88
.LBB34_56:                              ;   in Loop: Header=BB34_23 Depth=1
	ds_read_b32 v9, v1 offset:8192
	s_waitcnt lgkmcnt(0)
	v_add_nc_u32_e32 v6, v9, v6
	s_or_b32 exec_lo, exec_lo, s40
	s_and_saveexec_b32 s40, s1
	s_cbranch_execz .LBB34_25
.LBB34_57:                              ;   in Loop: Header=BB34_23 Depth=1
	ds_read_b32 v9, v1 offset:8196
	s_waitcnt lgkmcnt(0)
	v_add_nc_u32_e32 v6, v9, v6
	s_or_b32 exec_lo, exec_lo, s40
	s_and_saveexec_b32 s40, s2
	s_cbranch_execz .LBB34_26
.LBB34_58:                              ;   in Loop: Header=BB34_23 Depth=1
	ds_read_b32 v9, v1 offset:8200
	s_waitcnt lgkmcnt(0)
	v_add_nc_u32_e32 v6, v9, v6
	s_or_b32 exec_lo, exec_lo, s40
	s_and_saveexec_b32 s40, s3
	s_cbranch_execz .LBB34_27
.LBB34_59:                              ;   in Loop: Header=BB34_23 Depth=1
	ds_read_b32 v9, v1 offset:8204
	s_waitcnt lgkmcnt(0)
	v_add_nc_u32_e32 v6, v9, v6
	s_or_b32 exec_lo, exec_lo, s40
	s_and_saveexec_b32 s40, s4
	s_cbranch_execz .LBB34_28
.LBB34_60:                              ;   in Loop: Header=BB34_23 Depth=1
	ds_read_b32 v9, v1 offset:8208
	s_waitcnt lgkmcnt(0)
	v_add_nc_u32_e32 v6, v9, v6
	s_or_b32 exec_lo, exec_lo, s40
	s_and_saveexec_b32 s40, s5
	s_cbranch_execz .LBB34_29
.LBB34_61:                              ;   in Loop: Header=BB34_23 Depth=1
	ds_read_b32 v9, v1 offset:8212
	s_waitcnt lgkmcnt(0)
	v_add_nc_u32_e32 v6, v9, v6
	s_or_b32 exec_lo, exec_lo, s40
	s_and_saveexec_b32 s40, s6
	s_cbranch_execz .LBB34_30
.LBB34_62:                              ;   in Loop: Header=BB34_23 Depth=1
	ds_read_b32 v9, v1 offset:8216
	s_waitcnt lgkmcnt(0)
	v_add_nc_u32_e32 v6, v9, v6
	s_or_b32 exec_lo, exec_lo, s40
	s_and_saveexec_b32 s40, s7
	s_cbranch_execz .LBB34_31
.LBB34_63:                              ;   in Loop: Header=BB34_23 Depth=1
	ds_read_b32 v9, v1 offset:8220
	s_waitcnt lgkmcnt(0)
	v_add_nc_u32_e32 v6, v9, v6
	s_or_b32 exec_lo, exec_lo, s40
	s_and_saveexec_b32 s40, s8
	s_cbranch_execz .LBB34_32
.LBB34_64:                              ;   in Loop: Header=BB34_23 Depth=1
	ds_read_b32 v9, v1 offset:8224
	s_waitcnt lgkmcnt(0)
	v_add_nc_u32_e32 v6, v9, v6
	s_or_b32 exec_lo, exec_lo, s40
	s_and_saveexec_b32 s40, s9
	s_cbranch_execz .LBB34_33
.LBB34_65:                              ;   in Loop: Header=BB34_23 Depth=1
	ds_read_b32 v9, v1 offset:8228
	s_waitcnt lgkmcnt(0)
	v_add_nc_u32_e32 v6, v9, v6
	s_or_b32 exec_lo, exec_lo, s40
	s_and_saveexec_b32 s40, s10
	s_cbranch_execz .LBB34_34
.LBB34_66:                              ;   in Loop: Header=BB34_23 Depth=1
	ds_read_b32 v9, v1 offset:8232
	s_waitcnt lgkmcnt(0)
	v_add_nc_u32_e32 v6, v9, v6
	s_or_b32 exec_lo, exec_lo, s40
	s_and_saveexec_b32 s40, s11
	s_cbranch_execz .LBB34_35
.LBB34_67:                              ;   in Loop: Header=BB34_23 Depth=1
	ds_read_b32 v9, v1 offset:8236
	s_waitcnt lgkmcnt(0)
	v_add_nc_u32_e32 v6, v9, v6
	s_or_b32 exec_lo, exec_lo, s40
	s_and_saveexec_b32 s40, s12
	s_cbranch_execz .LBB34_36
.LBB34_68:                              ;   in Loop: Header=BB34_23 Depth=1
	ds_read_b32 v9, v1 offset:8240
	s_waitcnt lgkmcnt(0)
	v_add_nc_u32_e32 v6, v9, v6
	s_or_b32 exec_lo, exec_lo, s40
	s_and_saveexec_b32 s40, s13
	s_cbranch_execz .LBB34_37
.LBB34_69:                              ;   in Loop: Header=BB34_23 Depth=1
	ds_read_b32 v9, v1 offset:8244
	s_waitcnt lgkmcnt(0)
	v_add_nc_u32_e32 v6, v9, v6
	s_or_b32 exec_lo, exec_lo, s40
	s_and_saveexec_b32 s40, s14
	s_cbranch_execz .LBB34_38
.LBB34_70:                              ;   in Loop: Header=BB34_23 Depth=1
	ds_read_b32 v9, v1 offset:8248
	s_waitcnt lgkmcnt(0)
	v_add_nc_u32_e32 v6, v9, v6
	s_or_b32 exec_lo, exec_lo, s40
	s_and_saveexec_b32 s40, s15
	s_cbranch_execz .LBB34_39
.LBB34_71:                              ;   in Loop: Header=BB34_23 Depth=1
	ds_read_b32 v9, v1 offset:8252
	s_waitcnt lgkmcnt(0)
	v_add_nc_u32_e32 v6, v9, v6
	s_or_b32 exec_lo, exec_lo, s40
	s_and_saveexec_b32 s40, s16
	s_cbranch_execz .LBB34_40
.LBB34_72:                              ;   in Loop: Header=BB34_23 Depth=1
	ds_read_b32 v9, v1 offset:8256
	s_waitcnt lgkmcnt(0)
	v_add_nc_u32_e32 v6, v9, v6
	s_or_b32 exec_lo, exec_lo, s40
	s_and_saveexec_b32 s40, s17
	s_cbranch_execz .LBB34_41
.LBB34_73:                              ;   in Loop: Header=BB34_23 Depth=1
	ds_read_b32 v9, v1 offset:8260
	s_waitcnt lgkmcnt(0)
	v_add_nc_u32_e32 v6, v9, v6
	s_or_b32 exec_lo, exec_lo, s40
	s_and_saveexec_b32 s40, s18
	s_cbranch_execz .LBB34_42
.LBB34_74:                              ;   in Loop: Header=BB34_23 Depth=1
	ds_read_b32 v9, v1 offset:8264
	s_waitcnt lgkmcnt(0)
	v_add_nc_u32_e32 v6, v9, v6
	s_or_b32 exec_lo, exec_lo, s40
	s_and_saveexec_b32 s40, s19
	s_cbranch_execz .LBB34_43
.LBB34_75:                              ;   in Loop: Header=BB34_23 Depth=1
	ds_read_b32 v9, v1 offset:8268
	s_waitcnt lgkmcnt(0)
	v_add_nc_u32_e32 v6, v9, v6
	s_or_b32 exec_lo, exec_lo, s40
	s_and_saveexec_b32 s40, s20
	s_cbranch_execz .LBB34_44
.LBB34_76:                              ;   in Loop: Header=BB34_23 Depth=1
	ds_read_b32 v9, v1 offset:8272
	s_waitcnt lgkmcnt(0)
	v_add_nc_u32_e32 v6, v9, v6
	s_or_b32 exec_lo, exec_lo, s40
	s_and_saveexec_b32 s40, s21
	s_cbranch_execz .LBB34_45
.LBB34_77:                              ;   in Loop: Header=BB34_23 Depth=1
	ds_read_b32 v9, v1 offset:8276
	s_waitcnt lgkmcnt(0)
	v_add_nc_u32_e32 v6, v9, v6
	s_or_b32 exec_lo, exec_lo, s40
	s_and_saveexec_b32 s40, s22
	s_cbranch_execz .LBB34_46
.LBB34_78:                              ;   in Loop: Header=BB34_23 Depth=1
	ds_read_b32 v9, v1 offset:8280
	s_waitcnt lgkmcnt(0)
	v_add_nc_u32_e32 v6, v9, v6
	s_or_b32 exec_lo, exec_lo, s40
	s_and_saveexec_b32 s40, s23
	s_cbranch_execz .LBB34_47
.LBB34_79:                              ;   in Loop: Header=BB34_23 Depth=1
	ds_read_b32 v9, v1 offset:8284
	s_waitcnt lgkmcnt(0)
	v_add_nc_u32_e32 v6, v9, v6
	s_or_b32 exec_lo, exec_lo, s40
	s_and_saveexec_b32 s40, s24
	s_cbranch_execz .LBB34_48
.LBB34_80:                              ;   in Loop: Header=BB34_23 Depth=1
	ds_read_b32 v9, v1 offset:8288
	s_waitcnt lgkmcnt(0)
	v_add_nc_u32_e32 v6, v9, v6
	s_or_b32 exec_lo, exec_lo, s40
	s_and_saveexec_b32 s40, s25
	s_cbranch_execz .LBB34_49
.LBB34_81:                              ;   in Loop: Header=BB34_23 Depth=1
	ds_read_b32 v9, v1 offset:8292
	s_waitcnt lgkmcnt(0)
	v_add_nc_u32_e32 v6, v9, v6
	s_or_b32 exec_lo, exec_lo, s40
	s_and_saveexec_b32 s40, s26
	s_cbranch_execz .LBB34_50
.LBB34_82:                              ;   in Loop: Header=BB34_23 Depth=1
	ds_read_b32 v9, v1 offset:8296
	s_waitcnt lgkmcnt(0)
	v_add_nc_u32_e32 v6, v9, v6
	s_or_b32 exec_lo, exec_lo, s40
	s_and_saveexec_b32 s40, s27
	s_cbranch_execz .LBB34_51
.LBB34_83:                              ;   in Loop: Header=BB34_23 Depth=1
	ds_read_b32 v9, v1 offset:8300
	s_waitcnt lgkmcnt(0)
	v_add_nc_u32_e32 v6, v9, v6
	s_or_b32 exec_lo, exec_lo, s40
	s_and_saveexec_b32 s40, s28
	s_cbranch_execz .LBB34_52
.LBB34_84:                              ;   in Loop: Header=BB34_23 Depth=1
	ds_read_b32 v9, v1 offset:8304
	s_waitcnt lgkmcnt(0)
	v_add_nc_u32_e32 v6, v9, v6
	s_or_b32 exec_lo, exec_lo, s40
	s_and_saveexec_b32 s40, s29
	s_cbranch_execz .LBB34_53
.LBB34_85:                              ;   in Loop: Header=BB34_23 Depth=1
	ds_read_b32 v9, v1 offset:8308
	s_waitcnt lgkmcnt(0)
	v_add_nc_u32_e32 v6, v9, v6
	s_or_b32 exec_lo, exec_lo, s40
	s_and_saveexec_b32 s40, s30
	s_cbranch_execz .LBB34_54
.LBB34_86:                              ;   in Loop: Header=BB34_23 Depth=1
	ds_read_b32 v9, v1 offset:8312
	s_waitcnt lgkmcnt(0)
	v_add_nc_u32_e32 v6, v9, v6
	s_or_b32 exec_lo, exec_lo, s40
	s_and_saveexec_b32 s40, s31
	s_cbranch_execz .LBB34_55
.LBB34_87:                              ;   in Loop: Header=BB34_23 Depth=1
	v_lshlrev_b32_e32 v9, 2, v4
	v_lshlrev_b32_e32 v10, 2, v6
	v_add_nc_u32_e32 v9, 0, v9
	v_add3_u32 v9, v9, v10, -4
	ds_write_b32 v9, v5
	s_or_b32 exec_lo, exec_lo, s40
	s_and_saveexec_b32 s31, vcc_lo
	s_cbranch_execz .LBB34_22
.LBB34_88:                              ;   in Loop: Header=BB34_23 Depth=1
	ds_write_b32 v1, v6 offset:8316
	s_branch .LBB34_22
.LBB34_89:                              ;   in Loop: Header=BB34_90 Depth=1
	s_inst_prefetch 0x2
	s_or_b32 exec_lo, exec_lo, s4
	v_add_co_u32 v1, vcc_lo, 0x400, v1
	v_add_co_ci_u32_e64 v2, null, 0, v2, vcc_lo
	v_cmp_le_i64_e32 vcc_lo, s[0:1], v[1:2]
	s_or_b32 s3, vcc_lo, s3
	s_andn2_b32 exec_lo, exec_lo, s3
	s_cbranch_execz .LBB34_20
.LBB34_90:                              ; =>This Loop Header: Depth=1
                                        ;     Child Loop BB34_93 Depth 2
	v_lshlrev_b64 v[3:4], 2, v[1:2]
	s_mov_b32 s4, 0
                                        ; implicit-def: $sgpr5
	v_add_co_u32 v3, vcc_lo, s14, v3
	v_add_co_ci_u32_e64 v4, null, s15, v4, vcc_lo
	global_load_dword v3, v[3:4], off
	s_waitcnt vmcnt(0)
	v_subrev_nc_u32_e32 v3, s43, v3
	v_mul_lo_u32 v4, 0x89, v3
	v_and_b32_e32 v4, 0x7ff, v4
	s_inst_prefetch 0x1
	s_branch .LBB34_93
	.p2align	6
.LBB34_91:                              ;   in Loop: Header=BB34_93 Depth=2
	s_or_b32 exec_lo, exec_lo, s7
	s_andn2_b32 s5, s5, exec_lo
	s_and_b32 s7, s8, exec_lo
	s_or_b32 s5, s5, s7
.LBB34_92:                              ;   in Loop: Header=BB34_93 Depth=2
	s_or_b32 exec_lo, exec_lo, s6
	s_xor_b32 s6, s5, -1
	s_and_b32 s6, exec_lo, s6
	s_or_b32 s4, s6, s4
	s_andn2_b32 exec_lo, exec_lo, s4
	s_cbranch_execz .LBB34_89
.LBB34_93:                              ;   Parent Loop BB34_90 Depth=1
                                        ; =>  This Inner Loop Header: Depth=2
	v_lshl_add_u32 v5, v4, 2, 0
	s_andn2_b32 s5, s5, exec_lo
	s_mov_b32 s6, exec_lo
	ds_read_b32 v6, v5
	s_waitcnt lgkmcnt(0)
	v_cmpx_ne_u32_e64 v6, v3
	s_cbranch_execz .LBB34_92
; %bb.94:                               ;   in Loop: Header=BB34_93 Depth=2
	s_mov_b32 s7, exec_lo
	v_cmpx_ne_u32_e64 s33, v6
	s_xor_b32 s7, exec_lo, s7
; %bb.95:                               ;   in Loop: Header=BB34_93 Depth=2
	v_add_nc_u32_e32 v4, 1, v4
                                        ; implicit-def: $vgpr5
	v_and_b32_e32 v4, 0x7ff, v4
; %bb.96:                               ;   in Loop: Header=BB34_93 Depth=2
	s_or_saveexec_b32 s7, s7
	s_mov_b32 s8, -1
	s_xor_b32 exec_lo, exec_lo, s7
	s_cbranch_execz .LBB34_91
; %bb.97:                               ;   in Loop: Header=BB34_93 Depth=2
	v_mov_b32_e32 v6, s33
	ds_cmpst_rtn_b32 v5, v5, v6, v3
	s_waitcnt lgkmcnt(0)
	v_cmp_ne_u32_e32 vcc_lo, s33, v5
	s_orn2_b32 s8, vcc_lo, exec_lo
	s_branch .LBB34_91
.LBB34_98:
	s_or_b32 exec_lo, exec_lo, s35
	s_ashr_i32 s35, s34, 31
	s_mov_b32 s4, exec_lo
	s_lshl_b64 s[0:1], s[34:35], 3
	s_add_u32 s0, s36, s0
	s_addc_u32 s1, s37, s1
	s_load_dwordx4 s[0:3], s[0:1], 0x0
	s_waitcnt lgkmcnt(0)
	s_sub_i32 s3, s2, s0
	v_cmpx_gt_i32_e64 s3, v0
	s_cbranch_execz .LBB34_108
; %bb.99:
	s_sub_u32 s4, s0, s42
	s_subb_u32 s5, s1, 0
	s_sub_i32 s0, s0, s2
	s_and_b32 s1, s3, 7
	s_cmp_lt_u32 s0, -7
	s_mov_b32 s8, 0
	s_cselect_b32 s2, -1, 0
	s_and_b32 s6, s3, -8
	s_cmp_lg_u32 s1, 0
	s_cselect_b32 s7, -1, 0
	s_branch .LBB34_101
.LBB34_100:                             ;   in Loop: Header=BB34_101 Depth=1
	v_lshlrev_b64 v[1:2], 2, v[1:2]
	v_add_nc_u32_e32 v0, 0x400, v0
	s_waitcnt lgkmcnt(0)
	v_add_nc_u32_e32 v3, s42, v3
	v_cmp_le_i32_e32 vcc_lo, s3, v0
	v_add_co_u32 v1, s0, s38, v1
	v_add_co_ci_u32_e64 v2, null, s39, v2, s0
	s_or_b32 s8, vcc_lo, s8
	global_store_dword v[1:2], v3, off
	s_andn2_b32 exec_lo, exec_lo, s8
	s_cbranch_execz .LBB34_108
.LBB34_101:                             ; =>This Loop Header: Depth=1
                                        ;     Child Loop BB34_103 Depth 2
                                        ;     Child Loop BB34_107 Depth 2
	v_lshl_add_u32 v1, v0, 2, 0
	s_andn2_b32 vcc_lo, exec_lo, s2
	s_mov_b32 s0, 0
	ds_read_b32 v3, v1
	v_mov_b32_e32 v1, s4
	v_mov_b32_e32 v2, s5
	s_cbranch_vccnz .LBB34_105
; %bb.102:                              ;   in Loop: Header=BB34_101 Depth=1
	v_mov_b32_e32 v1, s4
	v_mov_b32_e32 v2, s5
	s_mov_b32 s9, 0
	s_mov_b32 s10, 0
.LBB34_103:                             ;   Parent Loop BB34_101 Depth=1
                                        ; =>  This Inner Loop Header: Depth=2
	v_mov_b32_e32 v10, s10
	s_add_i32 s9, s9, 8
	s_add_i32 s10, s10, 32
	s_cmp_eq_u32 s6, s9
	ds_read2_b32 v[4:5], v10 offset1:1
	ds_read2_b32 v[6:7], v10 offset0:2 offset1:3
	ds_read2_b32 v[8:9], v10 offset0:4 offset1:5
	;; [unrolled: 1-line block ×3, first 2 shown]
	s_waitcnt lgkmcnt(3)
	v_cmp_gt_i32_e32 vcc_lo, v3, v4
	v_cndmask_b32_e64 v4, 0, 1, vcc_lo
	v_cmp_gt_i32_e32 vcc_lo, v3, v5
	v_cndmask_b32_e64 v5, 0, 1, vcc_lo
	s_waitcnt lgkmcnt(2)
	v_cmp_gt_i32_e32 vcc_lo, v3, v6
	v_cndmask_b32_e64 v6, 0, 1, vcc_lo
	v_cmp_gt_i32_e32 vcc_lo, v3, v7
	v_cndmask_b32_e64 v7, 0, 1, vcc_lo
	s_waitcnt lgkmcnt(1)
	v_cmp_gt_i32_e32 vcc_lo, v3, v8
	v_cndmask_b32_e64 v8, 0, 1, vcc_lo
	v_add_co_u32 v1, vcc_lo, v1, v4
	v_add_co_ci_u32_e64 v2, null, 0, v2, vcc_lo
	v_cmp_gt_i32_e32 vcc_lo, v3, v9
	v_add_co_u32 v1, s0, v1, v5
	v_add_co_ci_u32_e64 v2, null, 0, v2, s0
	v_cndmask_b32_e64 v4, 0, 1, vcc_lo
	v_add_co_u32 v1, vcc_lo, v1, v6
	v_add_co_ci_u32_e64 v2, null, 0, v2, vcc_lo
	s_waitcnt lgkmcnt(0)
	v_cmp_gt_i32_e32 vcc_lo, v3, v10
	v_add_co_u32 v1, s0, v1, v7
	v_add_co_ci_u32_e64 v2, null, 0, v2, s0
	v_cndmask_b32_e64 v5, 0, 1, vcc_lo
	v_add_co_u32 v1, vcc_lo, v1, v8
	v_add_co_ci_u32_e64 v2, null, 0, v2, vcc_lo
	v_cmp_gt_i32_e32 vcc_lo, v3, v11
	v_add_co_u32 v1, s0, v1, v4
	v_add_co_ci_u32_e64 v2, null, 0, v2, s0
	v_cndmask_b32_e64 v4, 0, 1, vcc_lo
	v_add_co_u32 v1, vcc_lo, v1, v5
	v_add_co_ci_u32_e64 v2, null, 0, v2, vcc_lo
	v_add_co_u32 v1, vcc_lo, v1, v4
	v_add_co_ci_u32_e64 v2, null, 0, v2, vcc_lo
	s_cbranch_scc0 .LBB34_103
; %bb.104:                              ;   in Loop: Header=BB34_101 Depth=1
	s_mov_b32 s0, s6
.LBB34_105:                             ;   in Loop: Header=BB34_101 Depth=1
	s_andn2_b32 vcc_lo, exec_lo, s7
	s_cbranch_vccnz .LBB34_100
; %bb.106:                              ;   in Loop: Header=BB34_101 Depth=1
	s_lshl_b32 s0, s0, 2
	s_mov_b32 s9, s1
	s_add_i32 s0, s0, 0
.LBB34_107:                             ;   Parent Loop BB34_101 Depth=1
                                        ; =>  This Inner Loop Header: Depth=2
	v_mov_b32_e32 v4, s0
	s_add_i32 s9, s9, -1
	s_add_i32 s0, s0, 4
	s_cmp_lg_u32 s9, 0
	ds_read_b32 v4, v4
	s_waitcnt lgkmcnt(0)
	v_cmp_gt_i32_e32 vcc_lo, v3, v4
	v_cndmask_b32_e64 v4, 0, 1, vcc_lo
	v_add_co_u32 v1, vcc_lo, v1, v4
	v_add_co_ci_u32_e64 v2, null, 0, v2, vcc_lo
	s_cbranch_scc1 .LBB34_107
	s_branch .LBB34_100
.LBB34_108:
	s_endpgm
	.section	.rodata,"a",@progbits
	.p2align	6, 0x0
	.amdhsa_kernel _ZN9rocsparseL35csrgemm_symbolic_fill_block_per_rowILj1024ELj32ELj2048ELj137ELj32EliEEvT5_PKS1_S3_PKT4_S3_S6_S3_S6_S3_S6_PS1_21rocsparse_index_base_S8_S8_S8_bb
		.amdhsa_group_segment_fixed_size 0
		.amdhsa_private_segment_fixed_size 0
		.amdhsa_kernarg_size 108
		.amdhsa_user_sgpr_count 6
		.amdhsa_user_sgpr_private_segment_buffer 1
		.amdhsa_user_sgpr_dispatch_ptr 0
		.amdhsa_user_sgpr_queue_ptr 0
		.amdhsa_user_sgpr_kernarg_segment_ptr 1
		.amdhsa_user_sgpr_dispatch_id 0
		.amdhsa_user_sgpr_flat_scratch_init 0
		.amdhsa_user_sgpr_private_segment_size 0
		.amdhsa_wavefront_size32 1
		.amdhsa_uses_dynamic_stack 0
		.amdhsa_system_sgpr_private_segment_wavefront_offset 0
		.amdhsa_system_sgpr_workgroup_id_x 1
		.amdhsa_system_sgpr_workgroup_id_y 0
		.amdhsa_system_sgpr_workgroup_id_z 0
		.amdhsa_system_sgpr_workgroup_info 0
		.amdhsa_system_vgpr_workitem_id 0
		.amdhsa_next_free_vgpr 16
		.amdhsa_next_free_sgpr 44
		.amdhsa_reserve_vcc 1
		.amdhsa_reserve_flat_scratch 0
		.amdhsa_float_round_mode_32 0
		.amdhsa_float_round_mode_16_64 0
		.amdhsa_float_denorm_mode_32 3
		.amdhsa_float_denorm_mode_16_64 3
		.amdhsa_dx10_clamp 1
		.amdhsa_ieee_mode 1
		.amdhsa_fp16_overflow 0
		.amdhsa_workgroup_processor_mode 1
		.amdhsa_memory_ordered 1
		.amdhsa_forward_progress 1
		.amdhsa_shared_vgpr_count 0
		.amdhsa_exception_fp_ieee_invalid_op 0
		.amdhsa_exception_fp_denorm_src 0
		.amdhsa_exception_fp_ieee_div_zero 0
		.amdhsa_exception_fp_ieee_overflow 0
		.amdhsa_exception_fp_ieee_underflow 0
		.amdhsa_exception_fp_ieee_inexact 0
		.amdhsa_exception_int_div_zero 0
	.end_amdhsa_kernel
	.section	.text._ZN9rocsparseL35csrgemm_symbolic_fill_block_per_rowILj1024ELj32ELj2048ELj137ELj32EliEEvT5_PKS1_S3_PKT4_S3_S6_S3_S6_S3_S6_PS1_21rocsparse_index_base_S8_S8_S8_bb,"axG",@progbits,_ZN9rocsparseL35csrgemm_symbolic_fill_block_per_rowILj1024ELj32ELj2048ELj137ELj32EliEEvT5_PKS1_S3_PKT4_S3_S6_S3_S6_S3_S6_PS1_21rocsparse_index_base_S8_S8_S8_bb,comdat
.Lfunc_end34:
	.size	_ZN9rocsparseL35csrgemm_symbolic_fill_block_per_rowILj1024ELj32ELj2048ELj137ELj32EliEEvT5_PKS1_S3_PKT4_S3_S6_S3_S6_S3_S6_PS1_21rocsparse_index_base_S8_S8_S8_bb, .Lfunc_end34-_ZN9rocsparseL35csrgemm_symbolic_fill_block_per_rowILj1024ELj32ELj2048ELj137ELj32EliEEvT5_PKS1_S3_PKT4_S3_S6_S3_S6_S3_S6_PS1_21rocsparse_index_base_S8_S8_S8_bb
                                        ; -- End function
	.set _ZN9rocsparseL35csrgemm_symbolic_fill_block_per_rowILj1024ELj32ELj2048ELj137ELj32EliEEvT5_PKS1_S3_PKT4_S3_S6_S3_S6_S3_S6_PS1_21rocsparse_index_base_S8_S8_S8_bb.num_vgpr, 16
	.set _ZN9rocsparseL35csrgemm_symbolic_fill_block_per_rowILj1024ELj32ELj2048ELj137ELj32EliEEvT5_PKS1_S3_PKT4_S3_S6_S3_S6_S3_S6_PS1_21rocsparse_index_base_S8_S8_S8_bb.num_agpr, 0
	.set _ZN9rocsparseL35csrgemm_symbolic_fill_block_per_rowILj1024ELj32ELj2048ELj137ELj32EliEEvT5_PKS1_S3_PKT4_S3_S6_S3_S6_S3_S6_PS1_21rocsparse_index_base_S8_S8_S8_bb.numbered_sgpr, 44
	.set _ZN9rocsparseL35csrgemm_symbolic_fill_block_per_rowILj1024ELj32ELj2048ELj137ELj32EliEEvT5_PKS1_S3_PKT4_S3_S6_S3_S6_S3_S6_PS1_21rocsparse_index_base_S8_S8_S8_bb.num_named_barrier, 0
	.set _ZN9rocsparseL35csrgemm_symbolic_fill_block_per_rowILj1024ELj32ELj2048ELj137ELj32EliEEvT5_PKS1_S3_PKT4_S3_S6_S3_S6_S3_S6_PS1_21rocsparse_index_base_S8_S8_S8_bb.private_seg_size, 0
	.set _ZN9rocsparseL35csrgemm_symbolic_fill_block_per_rowILj1024ELj32ELj2048ELj137ELj32EliEEvT5_PKS1_S3_PKT4_S3_S6_S3_S6_S3_S6_PS1_21rocsparse_index_base_S8_S8_S8_bb.uses_vcc, 1
	.set _ZN9rocsparseL35csrgemm_symbolic_fill_block_per_rowILj1024ELj32ELj2048ELj137ELj32EliEEvT5_PKS1_S3_PKT4_S3_S6_S3_S6_S3_S6_PS1_21rocsparse_index_base_S8_S8_S8_bb.uses_flat_scratch, 0
	.set _ZN9rocsparseL35csrgemm_symbolic_fill_block_per_rowILj1024ELj32ELj2048ELj137ELj32EliEEvT5_PKS1_S3_PKT4_S3_S6_S3_S6_S3_S6_PS1_21rocsparse_index_base_S8_S8_S8_bb.has_dyn_sized_stack, 0
	.set _ZN9rocsparseL35csrgemm_symbolic_fill_block_per_rowILj1024ELj32ELj2048ELj137ELj32EliEEvT5_PKS1_S3_PKT4_S3_S6_S3_S6_S3_S6_PS1_21rocsparse_index_base_S8_S8_S8_bb.has_recursion, 0
	.set _ZN9rocsparseL35csrgemm_symbolic_fill_block_per_rowILj1024ELj32ELj2048ELj137ELj32EliEEvT5_PKS1_S3_PKT4_S3_S6_S3_S6_S3_S6_PS1_21rocsparse_index_base_S8_S8_S8_bb.has_indirect_call, 0
	.section	.AMDGPU.csdata,"",@progbits
; Kernel info:
; codeLenInByte = 3692
; TotalNumSgprs: 46
; NumVgprs: 16
; ScratchSize: 0
; MemoryBound: 0
; FloatMode: 240
; IeeeMode: 1
; LDSByteSize: 0 bytes/workgroup (compile time only)
; SGPRBlocks: 0
; VGPRBlocks: 1
; NumSGPRsForWavesPerEU: 46
; NumVGPRsForWavesPerEU: 16
; Occupancy: 16
; WaveLimiterHint : 1
; COMPUTE_PGM_RSRC2:SCRATCH_EN: 0
; COMPUTE_PGM_RSRC2:USER_SGPR: 6
; COMPUTE_PGM_RSRC2:TRAP_HANDLER: 0
; COMPUTE_PGM_RSRC2:TGID_X_EN: 1
; COMPUTE_PGM_RSRC2:TGID_Y_EN: 0
; COMPUTE_PGM_RSRC2:TGID_Z_EN: 0
; COMPUTE_PGM_RSRC2:TIDIG_COMP_CNT: 0
	.section	.text._ZN9rocsparseL35csrgemm_symbolic_fill_block_per_rowILj1024ELj32ELj2048ELj137ELj64EliEEvT5_PKS1_S3_PKT4_S3_S6_S3_S6_S3_S6_PS1_21rocsparse_index_base_S8_S8_S8_bb,"axG",@progbits,_ZN9rocsparseL35csrgemm_symbolic_fill_block_per_rowILj1024ELj32ELj2048ELj137ELj64EliEEvT5_PKS1_S3_PKT4_S3_S6_S3_S6_S3_S6_PS1_21rocsparse_index_base_S8_S8_S8_bb,comdat
	.globl	_ZN9rocsparseL35csrgemm_symbolic_fill_block_per_rowILj1024ELj32ELj2048ELj137ELj64EliEEvT5_PKS1_S3_PKT4_S3_S6_S3_S6_S3_S6_PS1_21rocsparse_index_base_S8_S8_S8_bb ; -- Begin function _ZN9rocsparseL35csrgemm_symbolic_fill_block_per_rowILj1024ELj32ELj2048ELj137ELj64EliEEvT5_PKS1_S3_PKT4_S3_S6_S3_S6_S3_S6_PS1_21rocsparse_index_base_S8_S8_S8_bb
	.p2align	8
	.type	_ZN9rocsparseL35csrgemm_symbolic_fill_block_per_rowILj1024ELj32ELj2048ELj137ELj64EliEEvT5_PKS1_S3_PKT4_S3_S6_S3_S6_S3_S6_PS1_21rocsparse_index_base_S8_S8_S8_bb,@function
_ZN9rocsparseL35csrgemm_symbolic_fill_block_per_rowILj1024ELj32ELj2048ELj137ELj64EliEEvT5_PKS1_S3_PKT4_S3_S6_S3_S6_S3_S6_PS1_21rocsparse_index_base_S8_S8_S8_bb: ; @_ZN9rocsparseL35csrgemm_symbolic_fill_block_per_rowILj1024ELj32ELj2048ELj137ELj64EliEEvT5_PKS1_S3_PKT4_S3_S6_S3_S6_S3_S6_PS1_21rocsparse_index_base_S8_S8_S8_bb
; %bb.0:
	s_clause 0x3
	s_load_dword s30, s[4:5], 0x0
	s_load_dwordx4 s[24:27], s[4:5], 0x48
	s_load_dwordx8 s[8:15], s[4:5], 0x28
	s_load_dwordx8 s[16:23], s[4:5], 0x8
	v_lshl_add_u32 v7, v0, 2, 0
	v_or_b32_e32 v8, 0xfffffc00, v0
	s_mov_b32 s0, 0
	v_mov_b32_e32 v1, v7
	v_mov_b32_e32 v3, v8
	s_waitcnt lgkmcnt(0)
	v_mov_b32_e32 v2, s30
.LBB35_1:                               ; =>This Inner Loop Header: Depth=1
	v_add_co_u32 v3, s1, 0x400, v3
	s_xor_b32 s1, s1, -1
	ds_write_b32 v1, v2
	v_add_nc_u32_e32 v1, 0x1000, v1
	s_and_b32 s1, exec_lo, s1
	s_or_b32 s0, s1, s0
	s_andn2_b32 exec_lo, exec_lo, s0
	s_cbranch_execnz .LBB35_1
; %bb.2:
	s_or_b32 exec_lo, exec_lo, s0
	s_load_dword s2, s[4:5], 0x68
	s_waitcnt lgkmcnt(0)
	s_barrier
	buffer_gl0_inv
	s_load_dword s0, s[16:17], 0x0
	s_mov_b32 s1, 0
	s_bitcmp1_b32 s2, 0
	s_cselect_b32 s3, -1, 0
	s_waitcnt lgkmcnt(0)
	s_add_i32 s0, s0, s6
	s_lshl_b64 s[0:1], s[0:1], 2
	s_add_u32 s0, s18, s0
	s_addc_u32 s1, s19, s1
	s_load_dwordx4 s[16:19], s[4:5], 0x58
	s_load_dword s28, s[0:1], 0x0
	s_and_b32 vcc_lo, exec_lo, s3
	s_cbranch_vccz .LBB35_18
; %bb.3:
	s_waitcnt lgkmcnt(0)
	s_ashr_i32 s29, s28, 31
	v_lshrrev_b32_e32 v1, 5, v0
	s_lshl_b64 s[0:1], s[28:29], 3
	s_mov_b32 s3, exec_lo
	s_add_u32 s0, s20, s0
	s_addc_u32 s1, s21, s1
	s_load_dwordx4 s[4:7], s[0:1], 0x0
	v_sub_co_u32 v1, s0, v1, s16
	v_sub_co_ci_u32_e64 v2, null, 0, 0, s0
	s_waitcnt lgkmcnt(0)
	v_add_co_u32 v1, vcc_lo, s4, v1
	v_add_co_ci_u32_e64 v2, null, s5, v2, vcc_lo
	s_sub_u32 s0, s6, s16
	s_subb_u32 s1, s7, 0
	v_cmpx_gt_i64_e64 s[0:1], v[1:2]
	s_cbranch_execz .LBB35_17
; %bb.4:
	v_and_b32_e32 v3, 31, v0
	s_mov_b32 s5, s17
	v_sub_co_u32 v9, s4, v3, s17
	v_sub_co_ci_u32_e64 v10, null, 0, 0, s4
	s_mov_b32 s4, 0
	s_branch .LBB35_6
.LBB35_5:                               ;   in Loop: Header=BB35_6 Depth=1
	s_or_b32 exec_lo, exec_lo, s6
	v_add_co_u32 v1, vcc_lo, v1, 32
	v_add_co_ci_u32_e64 v2, null, 0, v2, vcc_lo
	v_cmp_le_i64_e32 vcc_lo, s[0:1], v[1:2]
	s_or_b32 s4, vcc_lo, s4
	s_andn2_b32 exec_lo, exec_lo, s4
	s_cbranch_execz .LBB35_17
.LBB35_6:                               ; =>This Loop Header: Depth=1
                                        ;     Child Loop BB35_9 Depth 2
                                        ;       Child Loop BB35_12 Depth 3
	v_lshlrev_b64 v[3:4], 2, v[1:2]
	s_mov_b32 s6, exec_lo
	v_add_co_u32 v3, vcc_lo, s22, v3
	v_add_co_ci_u32_e64 v4, null, s23, v4, vcc_lo
	global_load_dword v3, v[3:4], off
	s_waitcnt vmcnt(0)
	v_subrev_nc_u32_e32 v3, s16, v3
	v_ashrrev_i32_e32 v4, 31, v3
	v_lshlrev_b64 v[3:4], 3, v[3:4]
	v_add_co_u32 v3, vcc_lo, s8, v3
	v_add_co_ci_u32_e64 v4, null, s9, v4, vcc_lo
	global_load_dwordx4 v[11:14], v[3:4], off
	s_waitcnt vmcnt(0)
	v_sub_co_u32 v3, vcc_lo, v13, s5
	v_subrev_co_ci_u32_e64 v4, null, 0, v14, vcc_lo
	v_add_co_u32 v5, vcc_lo, v11, v9
	v_add_co_ci_u32_e64 v6, null, v12, v10, vcc_lo
	v_cmpx_lt_i64_e64 v[5:6], v[3:4]
	s_cbranch_execz .LBB35_5
; %bb.7:                                ;   in Loop: Header=BB35_6 Depth=1
	s_mov_b32 s7, 0
	s_branch .LBB35_9
.LBB35_8:                               ;   in Loop: Header=BB35_9 Depth=2
	s_inst_prefetch 0x2
	s_or_b32 exec_lo, exec_lo, s20
	v_add_co_u32 v5, vcc_lo, v5, 32
	v_add_co_ci_u32_e64 v6, null, 0, v6, vcc_lo
	v_cmp_ge_i64_e32 vcc_lo, v[5:6], v[3:4]
	s_or_b32 s7, vcc_lo, s7
	s_andn2_b32 exec_lo, exec_lo, s7
	s_cbranch_execz .LBB35_5
.LBB35_9:                               ;   Parent Loop BB35_6 Depth=1
                                        ; =>  This Loop Header: Depth=2
                                        ;       Child Loop BB35_12 Depth 3
	v_lshlrev_b64 v[11:12], 2, v[5:6]
	s_mov_b32 s20, 0
                                        ; implicit-def: $sgpr21
	v_add_co_u32 v11, vcc_lo, s10, v11
	v_add_co_ci_u32_e64 v12, null, s11, v12, vcc_lo
	global_load_dword v11, v[11:12], off
	s_waitcnt vmcnt(0)
	v_subrev_nc_u32_e32 v11, s17, v11
	v_mul_lo_u32 v12, 0x89, v11
	v_and_b32_e32 v12, 0x7ff, v12
	s_inst_prefetch 0x1
	s_branch .LBB35_12
	.p2align	6
.LBB35_10:                              ;   in Loop: Header=BB35_12 Depth=3
	s_or_b32 exec_lo, exec_lo, s31
	s_andn2_b32 s21, s21, exec_lo
	s_and_b32 s31, s33, exec_lo
	s_or_b32 s21, s21, s31
.LBB35_11:                              ;   in Loop: Header=BB35_12 Depth=3
	s_or_b32 exec_lo, exec_lo, s29
	s_xor_b32 s29, s21, -1
	s_and_b32 s29, exec_lo, s29
	s_or_b32 s20, s29, s20
	s_andn2_b32 exec_lo, exec_lo, s20
	s_cbranch_execz .LBB35_8
.LBB35_12:                              ;   Parent Loop BB35_6 Depth=1
                                        ;     Parent Loop BB35_9 Depth=2
                                        ; =>    This Inner Loop Header: Depth=3
	v_lshl_add_u32 v13, v12, 2, 0
	s_andn2_b32 s21, s21, exec_lo
	s_mov_b32 s29, exec_lo
	ds_read_b32 v14, v13
	s_waitcnt lgkmcnt(0)
	v_cmpx_ne_u32_e64 v14, v11
	s_cbranch_execz .LBB35_11
; %bb.13:                               ;   in Loop: Header=BB35_12 Depth=3
	s_mov_b32 s31, exec_lo
	v_cmpx_ne_u32_e64 s30, v14
	s_xor_b32 s31, exec_lo, s31
; %bb.14:                               ;   in Loop: Header=BB35_12 Depth=3
	v_add_nc_u32_e32 v12, 1, v12
                                        ; implicit-def: $vgpr13
	v_and_b32_e32 v12, 0x7ff, v12
; %bb.15:                               ;   in Loop: Header=BB35_12 Depth=3
	s_or_saveexec_b32 s31, s31
	s_mov_b32 s33, -1
	s_xor_b32 exec_lo, exec_lo, s31
	s_cbranch_execz .LBB35_10
; %bb.16:                               ;   in Loop: Header=BB35_12 Depth=3
	v_mov_b32_e32 v14, s30
	ds_cmpst_rtn_b32 v13, v13, v14, v11
	s_waitcnt lgkmcnt(0)
	v_cmp_ne_u32_e32 vcc_lo, s30, v13
	s_orn2_b32 s33, vcc_lo, exec_lo
	s_branch .LBB35_10
.LBB35_17:
	s_or_b32 exec_lo, exec_lo, s3
.LBB35_18:
	s_bfe_u32 s0, s2, 0x10008
	s_cmp_eq_u32 s0, 0
	s_cbranch_scc1 .LBB35_21
; %bb.19:
	s_waitcnt lgkmcnt(0)
	s_ashr_i32 s29, s28, 31
	v_sub_co_u32 v1, s4, v0, s19
	s_lshl_b64 s[0:1], s[28:29], 3
	v_sub_co_ci_u32_e64 v2, null, 0, 0, s4
	s_add_u32 s0, s12, s0
	s_addc_u32 s1, s13, s1
	s_load_dwordx4 s[0:3], s[0:1], 0x0
	s_waitcnt lgkmcnt(0)
	v_add_co_u32 v1, vcc_lo, s0, v1
	v_add_co_ci_u32_e64 v2, null, s1, v2, vcc_lo
	s_sub_u32 s0, s2, s19
	s_subb_u32 s1, s3, 0
	s_mov_b32 s3, 0
	s_mov_b32 s2, exec_lo
	v_cmpx_gt_i64_e64 s[0:1], v[1:2]
	s_cbranch_execnz .LBB35_58
.LBB35_20:
	s_or_b32 exec_lo, exec_lo, s2
.LBB35_21:
	v_mbcnt_lo_u32_b32 v2, -1, 0
	v_lshrrev_b32_e32 v3, 4, v0
	v_mov_b32_e32 v1, 0
	v_cmp_lt_u32_e64 s0, 63, v0
	v_cmp_lt_u32_e64 s1, 0x7f, v0
	v_xor_b32_e32 v2, 31, v2
	v_and_b32_e32 v3, 60, v3
	v_cmp_lt_u32_e64 s2, 0xbf, v0
	v_cmp_lt_u32_e64 s3, 0xff, v0
	;; [unrolled: 1-line block ×3, first 2 shown]
	v_lshrrev_b32_e64 v2, v2, -1
	v_add_nc_u32_e32 v3, 0, v3
	v_cmp_lt_u32_e64 s5, 0x17f, v0
	v_cmp_lt_u32_e64 s6, 0x1bf, v0
	;; [unrolled: 1-line block ×10, first 2 shown]
	v_mov_b32_e32 v4, 0
	s_waitcnt lgkmcnt(0)
	s_mov_b32 s16, 0
	v_cmp_eq_u32_e32 vcc_lo, 0x3ff, v0
	s_barrier
	buffer_gl0_inv
	s_branch .LBB35_23
.LBB35_22:                              ;   in Loop: Header=BB35_23 Depth=1
	s_or_b32 exec_lo, exec_lo, s15
	s_waitcnt lgkmcnt(0)
	s_barrier
	buffer_gl0_inv
	ds_read_b32 v5, v1 offset:8252
	v_add_co_u32 v8, s15, 0x400, v8
	s_xor_b32 s15, s15, -1
	v_add_nc_u32_e32 v7, 0x1000, v7
	s_and_b32 s15, exec_lo, s15
	s_or_b32 s16, s15, s16
	s_waitcnt lgkmcnt(0)
	v_add_nc_u32_e32 v4, v5, v4
	s_andn2_b32 exec_lo, exec_lo, s16
	s_cbranch_execz .LBB35_66
.LBB35_23:                              ; =>This Inner Loop Header: Depth=1
	ds_read_b32 v5, v7
	s_waitcnt lgkmcnt(0)
	s_barrier
	buffer_gl0_inv
	v_cmp_gt_i32_e64 s15, s30, v5
	v_and_b32_e32 v6, s15, v2
	s_bcnt1_i32_b32 s17, s15
	v_mov_b32_e32 v9, s17
	v_bcnt_u32_b32 v6, v6, 0
	ds_write_b32 v3, v9 offset:8192
	s_waitcnt lgkmcnt(0)
	s_barrier
	buffer_gl0_inv
	s_and_saveexec_b32 s17, s0
	s_cbranch_execnz .LBB35_40
; %bb.24:                               ;   in Loop: Header=BB35_23 Depth=1
	s_or_b32 exec_lo, exec_lo, s17
	s_and_saveexec_b32 s17, s1
	s_cbranch_execnz .LBB35_41
.LBB35_25:                              ;   in Loop: Header=BB35_23 Depth=1
	s_or_b32 exec_lo, exec_lo, s17
	s_and_saveexec_b32 s17, s2
	s_cbranch_execnz .LBB35_42
.LBB35_26:                              ;   in Loop: Header=BB35_23 Depth=1
	s_or_b32 exec_lo, exec_lo, s17
	s_and_saveexec_b32 s17, s3
	s_cbranch_execnz .LBB35_43
.LBB35_27:                              ;   in Loop: Header=BB35_23 Depth=1
	s_or_b32 exec_lo, exec_lo, s17
	s_and_saveexec_b32 s17, s4
	s_cbranch_execnz .LBB35_44
.LBB35_28:                              ;   in Loop: Header=BB35_23 Depth=1
	s_or_b32 exec_lo, exec_lo, s17
	s_and_saveexec_b32 s17, s5
	s_cbranch_execnz .LBB35_45
.LBB35_29:                              ;   in Loop: Header=BB35_23 Depth=1
	s_or_b32 exec_lo, exec_lo, s17
	s_and_saveexec_b32 s17, s6
	s_cbranch_execnz .LBB35_46
.LBB35_30:                              ;   in Loop: Header=BB35_23 Depth=1
	s_or_b32 exec_lo, exec_lo, s17
	s_and_saveexec_b32 s17, s7
	s_cbranch_execnz .LBB35_47
.LBB35_31:                              ;   in Loop: Header=BB35_23 Depth=1
	s_or_b32 exec_lo, exec_lo, s17
	s_and_saveexec_b32 s17, s8
	s_cbranch_execnz .LBB35_48
.LBB35_32:                              ;   in Loop: Header=BB35_23 Depth=1
	s_or_b32 exec_lo, exec_lo, s17
	s_and_saveexec_b32 s17, s9
	s_cbranch_execnz .LBB35_49
.LBB35_33:                              ;   in Loop: Header=BB35_23 Depth=1
	s_or_b32 exec_lo, exec_lo, s17
	s_and_saveexec_b32 s17, s10
	s_cbranch_execnz .LBB35_50
.LBB35_34:                              ;   in Loop: Header=BB35_23 Depth=1
	s_or_b32 exec_lo, exec_lo, s17
	s_and_saveexec_b32 s17, s11
	s_cbranch_execnz .LBB35_51
.LBB35_35:                              ;   in Loop: Header=BB35_23 Depth=1
	s_or_b32 exec_lo, exec_lo, s17
	s_and_saveexec_b32 s17, s12
	s_cbranch_execnz .LBB35_52
.LBB35_36:                              ;   in Loop: Header=BB35_23 Depth=1
	s_or_b32 exec_lo, exec_lo, s17
	s_and_saveexec_b32 s17, s13
	s_cbranch_execnz .LBB35_53
.LBB35_37:                              ;   in Loop: Header=BB35_23 Depth=1
	s_or_b32 exec_lo, exec_lo, s17
	s_and_saveexec_b32 s17, s14
	s_cbranch_execnz .LBB35_54
.LBB35_38:                              ;   in Loop: Header=BB35_23 Depth=1
	s_or_b32 exec_lo, exec_lo, s17
	s_and_saveexec_b32 s17, s15
	s_cbranch_execnz .LBB35_55
.LBB35_39:                              ;   in Loop: Header=BB35_23 Depth=1
	s_or_b32 exec_lo, exec_lo, s17
	s_and_saveexec_b32 s15, vcc_lo
	s_cbranch_execz .LBB35_22
	s_branch .LBB35_56
.LBB35_40:                              ;   in Loop: Header=BB35_23 Depth=1
	ds_read_b32 v9, v1 offset:8192
	s_waitcnt lgkmcnt(0)
	v_add_nc_u32_e32 v6, v9, v6
	s_or_b32 exec_lo, exec_lo, s17
	s_and_saveexec_b32 s17, s1
	s_cbranch_execz .LBB35_25
.LBB35_41:                              ;   in Loop: Header=BB35_23 Depth=1
	ds_read_b32 v9, v1 offset:8196
	s_waitcnt lgkmcnt(0)
	v_add_nc_u32_e32 v6, v9, v6
	s_or_b32 exec_lo, exec_lo, s17
	s_and_saveexec_b32 s17, s2
	s_cbranch_execz .LBB35_26
.LBB35_42:                              ;   in Loop: Header=BB35_23 Depth=1
	ds_read_b32 v9, v1 offset:8200
	s_waitcnt lgkmcnt(0)
	v_add_nc_u32_e32 v6, v9, v6
	s_or_b32 exec_lo, exec_lo, s17
	s_and_saveexec_b32 s17, s3
	s_cbranch_execz .LBB35_27
.LBB35_43:                              ;   in Loop: Header=BB35_23 Depth=1
	ds_read_b32 v9, v1 offset:8204
	s_waitcnt lgkmcnt(0)
	v_add_nc_u32_e32 v6, v9, v6
	s_or_b32 exec_lo, exec_lo, s17
	s_and_saveexec_b32 s17, s4
	s_cbranch_execz .LBB35_28
.LBB35_44:                              ;   in Loop: Header=BB35_23 Depth=1
	ds_read_b32 v9, v1 offset:8208
	s_waitcnt lgkmcnt(0)
	v_add_nc_u32_e32 v6, v9, v6
	s_or_b32 exec_lo, exec_lo, s17
	s_and_saveexec_b32 s17, s5
	s_cbranch_execz .LBB35_29
.LBB35_45:                              ;   in Loop: Header=BB35_23 Depth=1
	ds_read_b32 v9, v1 offset:8212
	s_waitcnt lgkmcnt(0)
	v_add_nc_u32_e32 v6, v9, v6
	s_or_b32 exec_lo, exec_lo, s17
	s_and_saveexec_b32 s17, s6
	s_cbranch_execz .LBB35_30
.LBB35_46:                              ;   in Loop: Header=BB35_23 Depth=1
	ds_read_b32 v9, v1 offset:8216
	s_waitcnt lgkmcnt(0)
	v_add_nc_u32_e32 v6, v9, v6
	s_or_b32 exec_lo, exec_lo, s17
	s_and_saveexec_b32 s17, s7
	s_cbranch_execz .LBB35_31
.LBB35_47:                              ;   in Loop: Header=BB35_23 Depth=1
	ds_read_b32 v9, v1 offset:8220
	s_waitcnt lgkmcnt(0)
	v_add_nc_u32_e32 v6, v9, v6
	s_or_b32 exec_lo, exec_lo, s17
	s_and_saveexec_b32 s17, s8
	s_cbranch_execz .LBB35_32
.LBB35_48:                              ;   in Loop: Header=BB35_23 Depth=1
	ds_read_b32 v9, v1 offset:8224
	s_waitcnt lgkmcnt(0)
	v_add_nc_u32_e32 v6, v9, v6
	s_or_b32 exec_lo, exec_lo, s17
	s_and_saveexec_b32 s17, s9
	s_cbranch_execz .LBB35_33
.LBB35_49:                              ;   in Loop: Header=BB35_23 Depth=1
	ds_read_b32 v9, v1 offset:8228
	s_waitcnt lgkmcnt(0)
	v_add_nc_u32_e32 v6, v9, v6
	s_or_b32 exec_lo, exec_lo, s17
	s_and_saveexec_b32 s17, s10
	s_cbranch_execz .LBB35_34
.LBB35_50:                              ;   in Loop: Header=BB35_23 Depth=1
	ds_read_b32 v9, v1 offset:8232
	s_waitcnt lgkmcnt(0)
	v_add_nc_u32_e32 v6, v9, v6
	s_or_b32 exec_lo, exec_lo, s17
	s_and_saveexec_b32 s17, s11
	s_cbranch_execz .LBB35_35
.LBB35_51:                              ;   in Loop: Header=BB35_23 Depth=1
	ds_read_b32 v9, v1 offset:8236
	s_waitcnt lgkmcnt(0)
	v_add_nc_u32_e32 v6, v9, v6
	s_or_b32 exec_lo, exec_lo, s17
	s_and_saveexec_b32 s17, s12
	s_cbranch_execz .LBB35_36
.LBB35_52:                              ;   in Loop: Header=BB35_23 Depth=1
	ds_read_b32 v9, v1 offset:8240
	s_waitcnt lgkmcnt(0)
	v_add_nc_u32_e32 v6, v9, v6
	s_or_b32 exec_lo, exec_lo, s17
	s_and_saveexec_b32 s17, s13
	s_cbranch_execz .LBB35_37
.LBB35_53:                              ;   in Loop: Header=BB35_23 Depth=1
	ds_read_b32 v9, v1 offset:8244
	s_waitcnt lgkmcnt(0)
	v_add_nc_u32_e32 v6, v9, v6
	s_or_b32 exec_lo, exec_lo, s17
	s_and_saveexec_b32 s17, s14
	s_cbranch_execz .LBB35_38
.LBB35_54:                              ;   in Loop: Header=BB35_23 Depth=1
	ds_read_b32 v9, v1 offset:8248
	s_waitcnt lgkmcnt(0)
	v_add_nc_u32_e32 v6, v9, v6
	s_or_b32 exec_lo, exec_lo, s17
	s_and_saveexec_b32 s17, s15
	s_cbranch_execz .LBB35_39
.LBB35_55:                              ;   in Loop: Header=BB35_23 Depth=1
	v_lshlrev_b32_e32 v9, 2, v4
	v_lshlrev_b32_e32 v10, 2, v6
	v_add_nc_u32_e32 v9, 0, v9
	v_add3_u32 v9, v9, v10, -4
	ds_write_b32 v9, v5
	s_or_b32 exec_lo, exec_lo, s17
	s_and_saveexec_b32 s15, vcc_lo
	s_cbranch_execz .LBB35_22
.LBB35_56:                              ;   in Loop: Header=BB35_23 Depth=1
	ds_write_b32 v1, v6 offset:8252
	s_branch .LBB35_22
.LBB35_57:                              ;   in Loop: Header=BB35_58 Depth=1
	s_inst_prefetch 0x2
	s_or_b32 exec_lo, exec_lo, s4
	v_add_co_u32 v1, vcc_lo, 0x400, v1
	v_add_co_ci_u32_e64 v2, null, 0, v2, vcc_lo
	v_cmp_le_i64_e32 vcc_lo, s[0:1], v[1:2]
	s_or_b32 s3, vcc_lo, s3
	s_andn2_b32 exec_lo, exec_lo, s3
	s_cbranch_execz .LBB35_20
.LBB35_58:                              ; =>This Loop Header: Depth=1
                                        ;     Child Loop BB35_61 Depth 2
	v_lshlrev_b64 v[3:4], 2, v[1:2]
	s_mov_b32 s4, 0
                                        ; implicit-def: $sgpr5
	v_add_co_u32 v3, vcc_lo, s14, v3
	v_add_co_ci_u32_e64 v4, null, s15, v4, vcc_lo
	global_load_dword v3, v[3:4], off
	s_waitcnt vmcnt(0)
	v_subrev_nc_u32_e32 v3, s19, v3
	v_mul_lo_u32 v4, 0x89, v3
	v_and_b32_e32 v4, 0x7ff, v4
	s_inst_prefetch 0x1
	s_branch .LBB35_61
	.p2align	6
.LBB35_59:                              ;   in Loop: Header=BB35_61 Depth=2
	s_or_b32 exec_lo, exec_lo, s7
	s_andn2_b32 s5, s5, exec_lo
	s_and_b32 s7, s8, exec_lo
	s_or_b32 s5, s5, s7
.LBB35_60:                              ;   in Loop: Header=BB35_61 Depth=2
	s_or_b32 exec_lo, exec_lo, s6
	s_xor_b32 s6, s5, -1
	s_and_b32 s6, exec_lo, s6
	s_or_b32 s4, s6, s4
	s_andn2_b32 exec_lo, exec_lo, s4
	s_cbranch_execz .LBB35_57
.LBB35_61:                              ;   Parent Loop BB35_58 Depth=1
                                        ; =>  This Inner Loop Header: Depth=2
	v_lshl_add_u32 v5, v4, 2, 0
	s_andn2_b32 s5, s5, exec_lo
	s_mov_b32 s6, exec_lo
	ds_read_b32 v6, v5
	s_waitcnt lgkmcnt(0)
	v_cmpx_ne_u32_e64 v6, v3
	s_cbranch_execz .LBB35_60
; %bb.62:                               ;   in Loop: Header=BB35_61 Depth=2
	s_mov_b32 s7, exec_lo
	v_cmpx_ne_u32_e64 s30, v6
	s_xor_b32 s7, exec_lo, s7
; %bb.63:                               ;   in Loop: Header=BB35_61 Depth=2
	v_add_nc_u32_e32 v4, 1, v4
                                        ; implicit-def: $vgpr5
	v_and_b32_e32 v4, 0x7ff, v4
; %bb.64:                               ;   in Loop: Header=BB35_61 Depth=2
	s_or_saveexec_b32 s7, s7
	s_mov_b32 s8, -1
	s_xor_b32 exec_lo, exec_lo, s7
	s_cbranch_execz .LBB35_59
; %bb.65:                               ;   in Loop: Header=BB35_61 Depth=2
	v_mov_b32_e32 v6, s30
	ds_cmpst_rtn_b32 v5, v5, v6, v3
	s_waitcnt lgkmcnt(0)
	v_cmp_ne_u32_e32 vcc_lo, s30, v5
	s_orn2_b32 s8, vcc_lo, exec_lo
	s_branch .LBB35_59
.LBB35_66:
	s_or_b32 exec_lo, exec_lo, s16
	s_ashr_i32 s29, s28, 31
	s_mov_b32 s4, exec_lo
	s_lshl_b64 s[0:1], s[28:29], 3
	s_add_u32 s0, s24, s0
	s_addc_u32 s1, s25, s1
	s_load_dwordx4 s[0:3], s[0:1], 0x0
	s_waitcnt lgkmcnt(0)
	s_sub_i32 s3, s2, s0
	v_cmpx_gt_i32_e64 s3, v0
	s_cbranch_execz .LBB35_76
; %bb.67:
	s_sub_u32 s4, s0, s18
	s_subb_u32 s5, s1, 0
	s_sub_i32 s0, s0, s2
	s_and_b32 s1, s3, 7
	s_cmp_lt_u32 s0, -7
	s_mov_b32 s8, 0
	s_cselect_b32 s2, -1, 0
	s_and_b32 s6, s3, -8
	s_cmp_lg_u32 s1, 0
	s_cselect_b32 s7, -1, 0
	s_branch .LBB35_69
.LBB35_68:                              ;   in Loop: Header=BB35_69 Depth=1
	v_lshlrev_b64 v[1:2], 2, v[1:2]
	v_add_nc_u32_e32 v0, 0x400, v0
	s_waitcnt lgkmcnt(0)
	v_add_nc_u32_e32 v3, s18, v3
	v_cmp_le_i32_e32 vcc_lo, s3, v0
	v_add_co_u32 v1, s0, s26, v1
	v_add_co_ci_u32_e64 v2, null, s27, v2, s0
	s_or_b32 s8, vcc_lo, s8
	global_store_dword v[1:2], v3, off
	s_andn2_b32 exec_lo, exec_lo, s8
	s_cbranch_execz .LBB35_76
.LBB35_69:                              ; =>This Loop Header: Depth=1
                                        ;     Child Loop BB35_71 Depth 2
                                        ;     Child Loop BB35_75 Depth 2
	v_lshl_add_u32 v1, v0, 2, 0
	s_andn2_b32 vcc_lo, exec_lo, s2
	s_mov_b32 s0, 0
	ds_read_b32 v3, v1
	v_mov_b32_e32 v1, s4
	v_mov_b32_e32 v2, s5
	s_cbranch_vccnz .LBB35_73
; %bb.70:                               ;   in Loop: Header=BB35_69 Depth=1
	v_mov_b32_e32 v1, s4
	v_mov_b32_e32 v2, s5
	s_mov_b32 s9, 0
	s_mov_b32 s10, 0
.LBB35_71:                              ;   Parent Loop BB35_69 Depth=1
                                        ; =>  This Inner Loop Header: Depth=2
	v_mov_b32_e32 v10, s10
	s_add_i32 s9, s9, 8
	s_add_i32 s10, s10, 32
	s_cmp_eq_u32 s6, s9
	ds_read2_b32 v[4:5], v10 offset1:1
	ds_read2_b32 v[6:7], v10 offset0:2 offset1:3
	ds_read2_b32 v[8:9], v10 offset0:4 offset1:5
	;; [unrolled: 1-line block ×3, first 2 shown]
	s_waitcnt lgkmcnt(3)
	v_cmp_gt_i32_e32 vcc_lo, v3, v4
	v_cndmask_b32_e64 v4, 0, 1, vcc_lo
	v_cmp_gt_i32_e32 vcc_lo, v3, v5
	v_cndmask_b32_e64 v5, 0, 1, vcc_lo
	s_waitcnt lgkmcnt(2)
	v_cmp_gt_i32_e32 vcc_lo, v3, v6
	v_cndmask_b32_e64 v6, 0, 1, vcc_lo
	v_cmp_gt_i32_e32 vcc_lo, v3, v7
	v_cndmask_b32_e64 v7, 0, 1, vcc_lo
	s_waitcnt lgkmcnt(1)
	v_cmp_gt_i32_e32 vcc_lo, v3, v8
	v_cndmask_b32_e64 v8, 0, 1, vcc_lo
	v_add_co_u32 v1, vcc_lo, v1, v4
	v_add_co_ci_u32_e64 v2, null, 0, v2, vcc_lo
	v_cmp_gt_i32_e32 vcc_lo, v3, v9
	v_add_co_u32 v1, s0, v1, v5
	v_add_co_ci_u32_e64 v2, null, 0, v2, s0
	v_cndmask_b32_e64 v4, 0, 1, vcc_lo
	v_add_co_u32 v1, vcc_lo, v1, v6
	v_add_co_ci_u32_e64 v2, null, 0, v2, vcc_lo
	s_waitcnt lgkmcnt(0)
	v_cmp_gt_i32_e32 vcc_lo, v3, v10
	v_add_co_u32 v1, s0, v1, v7
	v_add_co_ci_u32_e64 v2, null, 0, v2, s0
	v_cndmask_b32_e64 v5, 0, 1, vcc_lo
	v_add_co_u32 v1, vcc_lo, v1, v8
	v_add_co_ci_u32_e64 v2, null, 0, v2, vcc_lo
	v_cmp_gt_i32_e32 vcc_lo, v3, v11
	v_add_co_u32 v1, s0, v1, v4
	v_add_co_ci_u32_e64 v2, null, 0, v2, s0
	v_cndmask_b32_e64 v4, 0, 1, vcc_lo
	v_add_co_u32 v1, vcc_lo, v1, v5
	v_add_co_ci_u32_e64 v2, null, 0, v2, vcc_lo
	v_add_co_u32 v1, vcc_lo, v1, v4
	v_add_co_ci_u32_e64 v2, null, 0, v2, vcc_lo
	s_cbranch_scc0 .LBB35_71
; %bb.72:                               ;   in Loop: Header=BB35_69 Depth=1
	s_mov_b32 s0, s6
.LBB35_73:                              ;   in Loop: Header=BB35_69 Depth=1
	s_andn2_b32 vcc_lo, exec_lo, s7
	s_cbranch_vccnz .LBB35_68
; %bb.74:                               ;   in Loop: Header=BB35_69 Depth=1
	s_lshl_b32 s0, s0, 2
	s_mov_b32 s9, s1
	s_add_i32 s0, s0, 0
.LBB35_75:                              ;   Parent Loop BB35_69 Depth=1
                                        ; =>  This Inner Loop Header: Depth=2
	v_mov_b32_e32 v4, s0
	s_add_i32 s9, s9, -1
	s_add_i32 s0, s0, 4
	s_cmp_lg_u32 s9, 0
	ds_read_b32 v4, v4
	s_waitcnt lgkmcnt(0)
	v_cmp_gt_i32_e32 vcc_lo, v3, v4
	v_cndmask_b32_e64 v4, 0, 1, vcc_lo
	v_add_co_u32 v1, vcc_lo, v1, v4
	v_add_co_ci_u32_e64 v2, null, 0, v2, vcc_lo
	s_cbranch_scc1 .LBB35_75
	s_branch .LBB35_68
.LBB35_76:
	s_endpgm
	.section	.rodata,"a",@progbits
	.p2align	6, 0x0
	.amdhsa_kernel _ZN9rocsparseL35csrgemm_symbolic_fill_block_per_rowILj1024ELj32ELj2048ELj137ELj64EliEEvT5_PKS1_S3_PKT4_S3_S6_S3_S6_S3_S6_PS1_21rocsparse_index_base_S8_S8_S8_bb
		.amdhsa_group_segment_fixed_size 0
		.amdhsa_private_segment_fixed_size 0
		.amdhsa_kernarg_size 108
		.amdhsa_user_sgpr_count 6
		.amdhsa_user_sgpr_private_segment_buffer 1
		.amdhsa_user_sgpr_dispatch_ptr 0
		.amdhsa_user_sgpr_queue_ptr 0
		.amdhsa_user_sgpr_kernarg_segment_ptr 1
		.amdhsa_user_sgpr_dispatch_id 0
		.amdhsa_user_sgpr_flat_scratch_init 0
		.amdhsa_user_sgpr_private_segment_size 0
		.amdhsa_wavefront_size32 1
		.amdhsa_uses_dynamic_stack 0
		.amdhsa_system_sgpr_private_segment_wavefront_offset 0
		.amdhsa_system_sgpr_workgroup_id_x 1
		.amdhsa_system_sgpr_workgroup_id_y 0
		.amdhsa_system_sgpr_workgroup_id_z 0
		.amdhsa_system_sgpr_workgroup_info 0
		.amdhsa_system_vgpr_workitem_id 0
		.amdhsa_next_free_vgpr 15
		.amdhsa_next_free_sgpr 34
		.amdhsa_reserve_vcc 1
		.amdhsa_reserve_flat_scratch 0
		.amdhsa_float_round_mode_32 0
		.amdhsa_float_round_mode_16_64 0
		.amdhsa_float_denorm_mode_32 3
		.amdhsa_float_denorm_mode_16_64 3
		.amdhsa_dx10_clamp 1
		.amdhsa_ieee_mode 1
		.amdhsa_fp16_overflow 0
		.amdhsa_workgroup_processor_mode 1
		.amdhsa_memory_ordered 1
		.amdhsa_forward_progress 1
		.amdhsa_shared_vgpr_count 0
		.amdhsa_exception_fp_ieee_invalid_op 0
		.amdhsa_exception_fp_denorm_src 0
		.amdhsa_exception_fp_ieee_div_zero 0
		.amdhsa_exception_fp_ieee_overflow 0
		.amdhsa_exception_fp_ieee_underflow 0
		.amdhsa_exception_fp_ieee_inexact 0
		.amdhsa_exception_int_div_zero 0
	.end_amdhsa_kernel
	.section	.text._ZN9rocsparseL35csrgemm_symbolic_fill_block_per_rowILj1024ELj32ELj2048ELj137ELj64EliEEvT5_PKS1_S3_PKT4_S3_S6_S3_S6_S3_S6_PS1_21rocsparse_index_base_S8_S8_S8_bb,"axG",@progbits,_ZN9rocsparseL35csrgemm_symbolic_fill_block_per_rowILj1024ELj32ELj2048ELj137ELj64EliEEvT5_PKS1_S3_PKT4_S3_S6_S3_S6_S3_S6_PS1_21rocsparse_index_base_S8_S8_S8_bb,comdat
.Lfunc_end35:
	.size	_ZN9rocsparseL35csrgemm_symbolic_fill_block_per_rowILj1024ELj32ELj2048ELj137ELj64EliEEvT5_PKS1_S3_PKT4_S3_S6_S3_S6_S3_S6_PS1_21rocsparse_index_base_S8_S8_S8_bb, .Lfunc_end35-_ZN9rocsparseL35csrgemm_symbolic_fill_block_per_rowILj1024ELj32ELj2048ELj137ELj64EliEEvT5_PKS1_S3_PKT4_S3_S6_S3_S6_S3_S6_PS1_21rocsparse_index_base_S8_S8_S8_bb
                                        ; -- End function
	.set _ZN9rocsparseL35csrgemm_symbolic_fill_block_per_rowILj1024ELj32ELj2048ELj137ELj64EliEEvT5_PKS1_S3_PKT4_S3_S6_S3_S6_S3_S6_PS1_21rocsparse_index_base_S8_S8_S8_bb.num_vgpr, 15
	.set _ZN9rocsparseL35csrgemm_symbolic_fill_block_per_rowILj1024ELj32ELj2048ELj137ELj64EliEEvT5_PKS1_S3_PKT4_S3_S6_S3_S6_S3_S6_PS1_21rocsparse_index_base_S8_S8_S8_bb.num_agpr, 0
	.set _ZN9rocsparseL35csrgemm_symbolic_fill_block_per_rowILj1024ELj32ELj2048ELj137ELj64EliEEvT5_PKS1_S3_PKT4_S3_S6_S3_S6_S3_S6_PS1_21rocsparse_index_base_S8_S8_S8_bb.numbered_sgpr, 34
	.set _ZN9rocsparseL35csrgemm_symbolic_fill_block_per_rowILj1024ELj32ELj2048ELj137ELj64EliEEvT5_PKS1_S3_PKT4_S3_S6_S3_S6_S3_S6_PS1_21rocsparse_index_base_S8_S8_S8_bb.num_named_barrier, 0
	.set _ZN9rocsparseL35csrgemm_symbolic_fill_block_per_rowILj1024ELj32ELj2048ELj137ELj64EliEEvT5_PKS1_S3_PKT4_S3_S6_S3_S6_S3_S6_PS1_21rocsparse_index_base_S8_S8_S8_bb.private_seg_size, 0
	.set _ZN9rocsparseL35csrgemm_symbolic_fill_block_per_rowILj1024ELj32ELj2048ELj137ELj64EliEEvT5_PKS1_S3_PKT4_S3_S6_S3_S6_S3_S6_PS1_21rocsparse_index_base_S8_S8_S8_bb.uses_vcc, 1
	.set _ZN9rocsparseL35csrgemm_symbolic_fill_block_per_rowILj1024ELj32ELj2048ELj137ELj64EliEEvT5_PKS1_S3_PKT4_S3_S6_S3_S6_S3_S6_PS1_21rocsparse_index_base_S8_S8_S8_bb.uses_flat_scratch, 0
	.set _ZN9rocsparseL35csrgemm_symbolic_fill_block_per_rowILj1024ELj32ELj2048ELj137ELj64EliEEvT5_PKS1_S3_PKT4_S3_S6_S3_S6_S3_S6_PS1_21rocsparse_index_base_S8_S8_S8_bb.has_dyn_sized_stack, 0
	.set _ZN9rocsparseL35csrgemm_symbolic_fill_block_per_rowILj1024ELj32ELj2048ELj137ELj64EliEEvT5_PKS1_S3_PKT4_S3_S6_S3_S6_S3_S6_PS1_21rocsparse_index_base_S8_S8_S8_bb.has_recursion, 0
	.set _ZN9rocsparseL35csrgemm_symbolic_fill_block_per_rowILj1024ELj32ELj2048ELj137ELj64EliEEvT5_PKS1_S3_PKT4_S3_S6_S3_S6_S3_S6_PS1_21rocsparse_index_base_S8_S8_S8_bb.has_indirect_call, 0
	.section	.AMDGPU.csdata,"",@progbits
; Kernel info:
; codeLenInByte = 2860
; TotalNumSgprs: 36
; NumVgprs: 15
; ScratchSize: 0
; MemoryBound: 0
; FloatMode: 240
; IeeeMode: 1
; LDSByteSize: 0 bytes/workgroup (compile time only)
; SGPRBlocks: 0
; VGPRBlocks: 1
; NumSGPRsForWavesPerEU: 36
; NumVGPRsForWavesPerEU: 15
; Occupancy: 16
; WaveLimiterHint : 1
; COMPUTE_PGM_RSRC2:SCRATCH_EN: 0
; COMPUTE_PGM_RSRC2:USER_SGPR: 6
; COMPUTE_PGM_RSRC2:TRAP_HANDLER: 0
; COMPUTE_PGM_RSRC2:TGID_X_EN: 1
; COMPUTE_PGM_RSRC2:TGID_Y_EN: 0
; COMPUTE_PGM_RSRC2:TGID_Z_EN: 0
; COMPUTE_PGM_RSRC2:TIDIG_COMP_CNT: 0
	.section	.text._ZN9rocsparseL35csrgemm_symbolic_fill_block_per_rowILj1024ELj64ELj4096ELj137ELj32EliEEvT5_PKS1_S3_PKT4_S3_S6_S3_S6_S3_S6_PS1_21rocsparse_index_base_S8_S8_S8_bb,"axG",@progbits,_ZN9rocsparseL35csrgemm_symbolic_fill_block_per_rowILj1024ELj64ELj4096ELj137ELj32EliEEvT5_PKS1_S3_PKT4_S3_S6_S3_S6_S3_S6_PS1_21rocsparse_index_base_S8_S8_S8_bb,comdat
	.globl	_ZN9rocsparseL35csrgemm_symbolic_fill_block_per_rowILj1024ELj64ELj4096ELj137ELj32EliEEvT5_PKS1_S3_PKT4_S3_S6_S3_S6_S3_S6_PS1_21rocsparse_index_base_S8_S8_S8_bb ; -- Begin function _ZN9rocsparseL35csrgemm_symbolic_fill_block_per_rowILj1024ELj64ELj4096ELj137ELj32EliEEvT5_PKS1_S3_PKT4_S3_S6_S3_S6_S3_S6_PS1_21rocsparse_index_base_S8_S8_S8_bb
	.p2align	8
	.type	_ZN9rocsparseL35csrgemm_symbolic_fill_block_per_rowILj1024ELj64ELj4096ELj137ELj32EliEEvT5_PKS1_S3_PKT4_S3_S6_S3_S6_S3_S6_PS1_21rocsparse_index_base_S8_S8_S8_bb,@function
_ZN9rocsparseL35csrgemm_symbolic_fill_block_per_rowILj1024ELj64ELj4096ELj137ELj32EliEEvT5_PKS1_S3_PKT4_S3_S6_S3_S6_S3_S6_PS1_21rocsparse_index_base_S8_S8_S8_bb: ; @_ZN9rocsparseL35csrgemm_symbolic_fill_block_per_rowILj1024ELj64ELj4096ELj137ELj32EliEEvT5_PKS1_S3_PKT4_S3_S6_S3_S6_S3_S6_PS1_21rocsparse_index_base_S8_S8_S8_bb
; %bb.0:
	s_clause 0x3
	s_load_dword s33, s[4:5], 0x0
	s_load_dwordx4 s[36:39], s[4:5], 0x48
	s_load_dwordx8 s[8:15], s[4:5], 0x28
	s_load_dwordx8 s[16:23], s[4:5], 0x8
	v_lshl_add_u32 v7, v0, 2, 0
	v_or_b32_e32 v8, 0xfffffc00, v0
	s_mov_b32 s0, 0
	v_mov_b32_e32 v1, v7
	v_mov_b32_e32 v3, v8
	s_waitcnt lgkmcnt(0)
	v_mov_b32_e32 v2, s33
.LBB36_1:                               ; =>This Inner Loop Header: Depth=1
	v_add_nc_u32_e32 v3, 0x400, v3
	ds_write_b32 v1, v2
	v_add_nc_u32_e32 v1, 0x1000, v1
	v_cmp_lt_u32_e32 vcc_lo, 0xbff, v3
	s_or_b32 s0, vcc_lo, s0
	s_andn2_b32 exec_lo, exec_lo, s0
	s_cbranch_execnz .LBB36_1
; %bb.2:
	s_or_b32 exec_lo, exec_lo, s0
	s_load_dword s2, s[4:5], 0x68
	s_waitcnt lgkmcnt(0)
	s_barrier
	buffer_gl0_inv
	s_load_dword s0, s[16:17], 0x0
	s_mov_b32 s1, 0
	s_bitcmp1_b32 s2, 0
	s_cselect_b32 s3, -1, 0
	s_waitcnt lgkmcnt(0)
	s_add_i32 s0, s0, s6
	s_lshl_b64 s[0:1], s[0:1], 2
	s_add_u32 s0, s18, s0
	s_addc_u32 s1, s19, s1
	s_load_dwordx4 s[40:43], s[4:5], 0x58
	s_load_dword s34, s[0:1], 0x0
	s_and_b32 vcc_lo, exec_lo, s3
	s_cbranch_vccz .LBB36_18
; %bb.3:
	s_waitcnt lgkmcnt(0)
	s_ashr_i32 s35, s34, 31
	v_lshrrev_b32_e32 v1, 6, v0
	s_lshl_b64 s[0:1], s[34:35], 3
	s_mov_b32 s3, exec_lo
	s_add_u32 s0, s20, s0
	s_addc_u32 s1, s21, s1
	s_load_dwordx4 s[4:7], s[0:1], 0x0
	v_sub_co_u32 v1, s0, v1, s40
	v_sub_co_ci_u32_e64 v2, null, 0, 0, s0
	s_waitcnt lgkmcnt(0)
	v_add_co_u32 v1, vcc_lo, s4, v1
	v_add_co_ci_u32_e64 v2, null, s5, v2, vcc_lo
	s_sub_u32 s0, s6, s40
	s_subb_u32 s1, s7, 0
	v_cmpx_gt_i64_e64 s[0:1], v[1:2]
	s_cbranch_execz .LBB36_17
; %bb.4:
	v_and_b32_e32 v3, 63, v0
	s_mov_b32 s5, s41
	v_sub_co_u32 v9, s4, v3, s41
	v_sub_co_ci_u32_e64 v10, null, 0, 0, s4
	s_mov_b32 s4, 0
	s_branch .LBB36_6
.LBB36_5:                               ;   in Loop: Header=BB36_6 Depth=1
	s_or_b32 exec_lo, exec_lo, s6
	v_add_co_u32 v1, vcc_lo, v1, 16
	v_add_co_ci_u32_e64 v2, null, 0, v2, vcc_lo
	v_cmp_le_i64_e32 vcc_lo, s[0:1], v[1:2]
	s_or_b32 s4, vcc_lo, s4
	s_andn2_b32 exec_lo, exec_lo, s4
	s_cbranch_execz .LBB36_17
.LBB36_6:                               ; =>This Loop Header: Depth=1
                                        ;     Child Loop BB36_9 Depth 2
                                        ;       Child Loop BB36_12 Depth 3
	v_lshlrev_b64 v[3:4], 2, v[1:2]
	s_mov_b32 s6, exec_lo
	v_add_co_u32 v3, vcc_lo, s22, v3
	v_add_co_ci_u32_e64 v4, null, s23, v4, vcc_lo
	global_load_dword v3, v[3:4], off
	s_waitcnt vmcnt(0)
	v_subrev_nc_u32_e32 v3, s40, v3
	v_ashrrev_i32_e32 v4, 31, v3
	v_lshlrev_b64 v[3:4], 3, v[3:4]
	v_add_co_u32 v3, vcc_lo, s8, v3
	v_add_co_ci_u32_e64 v4, null, s9, v4, vcc_lo
	global_load_dwordx4 v[11:14], v[3:4], off
	s_waitcnt vmcnt(0)
	v_sub_co_u32 v3, vcc_lo, v13, s5
	v_subrev_co_ci_u32_e64 v4, null, 0, v14, vcc_lo
	v_add_co_u32 v5, vcc_lo, v11, v9
	v_add_co_ci_u32_e64 v6, null, v12, v10, vcc_lo
	v_cmpx_lt_i64_e64 v[5:6], v[3:4]
	s_cbranch_execz .LBB36_5
; %bb.7:                                ;   in Loop: Header=BB36_6 Depth=1
	s_mov_b32 s7, 0
	s_branch .LBB36_9
.LBB36_8:                               ;   in Loop: Header=BB36_9 Depth=2
	s_inst_prefetch 0x2
	s_or_b32 exec_lo, exec_lo, s16
	v_add_co_u32 v5, vcc_lo, v5, 64
	v_add_co_ci_u32_e64 v6, null, 0, v6, vcc_lo
	v_cmp_ge_i64_e32 vcc_lo, v[5:6], v[3:4]
	s_or_b32 s7, vcc_lo, s7
	s_andn2_b32 exec_lo, exec_lo, s7
	s_cbranch_execz .LBB36_5
.LBB36_9:                               ;   Parent Loop BB36_6 Depth=1
                                        ; =>  This Loop Header: Depth=2
                                        ;       Child Loop BB36_12 Depth 3
	v_lshlrev_b64 v[11:12], 2, v[5:6]
	s_mov_b32 s16, 0
                                        ; implicit-def: $sgpr17
	v_add_co_u32 v11, vcc_lo, s10, v11
	v_add_co_ci_u32_e64 v12, null, s11, v12, vcc_lo
	global_load_dword v11, v[11:12], off
	s_waitcnt vmcnt(0)
	v_subrev_nc_u32_e32 v11, s41, v11
	v_mul_lo_u32 v12, 0x89, v11
	v_and_b32_e32 v12, 0xfff, v12
	s_inst_prefetch 0x1
	s_branch .LBB36_12
	.p2align	6
.LBB36_10:                              ;   in Loop: Header=BB36_12 Depth=3
	s_or_b32 exec_lo, exec_lo, s19
	s_andn2_b32 s17, s17, exec_lo
	s_and_b32 s19, s20, exec_lo
	s_or_b32 s17, s17, s19
.LBB36_11:                              ;   in Loop: Header=BB36_12 Depth=3
	s_or_b32 exec_lo, exec_lo, s18
	s_xor_b32 s18, s17, -1
	s_and_b32 s18, exec_lo, s18
	s_or_b32 s16, s18, s16
	s_andn2_b32 exec_lo, exec_lo, s16
	s_cbranch_execz .LBB36_8
.LBB36_12:                              ;   Parent Loop BB36_6 Depth=1
                                        ;     Parent Loop BB36_9 Depth=2
                                        ; =>    This Inner Loop Header: Depth=3
	v_lshl_add_u32 v13, v12, 2, 0
	s_andn2_b32 s17, s17, exec_lo
	s_mov_b32 s18, exec_lo
	ds_read_b32 v14, v13
	s_waitcnt lgkmcnt(0)
	v_cmpx_ne_u32_e64 v14, v11
	s_cbranch_execz .LBB36_11
; %bb.13:                               ;   in Loop: Header=BB36_12 Depth=3
	s_mov_b32 s19, exec_lo
	v_cmpx_ne_u32_e64 s33, v14
	s_xor_b32 s19, exec_lo, s19
; %bb.14:                               ;   in Loop: Header=BB36_12 Depth=3
	v_add_nc_u32_e32 v12, 1, v12
                                        ; implicit-def: $vgpr13
	v_and_b32_e32 v12, 0xfff, v12
; %bb.15:                               ;   in Loop: Header=BB36_12 Depth=3
	s_or_saveexec_b32 s19, s19
	s_mov_b32 s20, -1
	s_xor_b32 exec_lo, exec_lo, s19
	s_cbranch_execz .LBB36_10
; %bb.16:                               ;   in Loop: Header=BB36_12 Depth=3
	v_mov_b32_e32 v14, s33
	ds_cmpst_rtn_b32 v13, v13, v14, v11
	s_waitcnt lgkmcnt(0)
	v_cmp_ne_u32_e32 vcc_lo, s33, v13
	s_orn2_b32 s20, vcc_lo, exec_lo
	s_branch .LBB36_10
.LBB36_17:
	s_or_b32 exec_lo, exec_lo, s3
.LBB36_18:
	s_bfe_u32 s0, s2, 0x10008
	s_cmp_eq_u32 s0, 0
	s_cbranch_scc1 .LBB36_21
; %bb.19:
	s_waitcnt lgkmcnt(0)
	s_ashr_i32 s35, s34, 31
	v_sub_co_u32 v1, s4, v0, s43
	s_lshl_b64 s[0:1], s[34:35], 3
	v_sub_co_ci_u32_e64 v2, null, 0, 0, s4
	s_add_u32 s0, s12, s0
	s_addc_u32 s1, s13, s1
	s_load_dwordx4 s[0:3], s[0:1], 0x0
	s_waitcnt lgkmcnt(0)
	v_add_co_u32 v1, vcc_lo, s0, v1
	v_add_co_ci_u32_e64 v2, null, s1, v2, vcc_lo
	s_sub_u32 s0, s2, s43
	s_subb_u32 s1, s3, 0
	s_mov_b32 s3, 0
	s_mov_b32 s2, exec_lo
	v_cmpx_gt_i64_e64 s[0:1], v[1:2]
	s_cbranch_execnz .LBB36_90
.LBB36_20:
	s_or_b32 exec_lo, exec_lo, s2
.LBB36_21:
	v_mbcnt_lo_u32_b32 v2, -1, 0
	v_lshrrev_b32_e32 v3, 3, v0
	v_mov_b32_e32 v1, 0
	v_cmp_lt_u32_e64 s0, 31, v0
	v_cmp_lt_u32_e64 s1, 63, v0
	v_xor_b32_e32 v2, 31, v2
	v_and_b32_e32 v3, 0x7c, v3
	v_cmp_lt_u32_e64 s2, 0x5f, v0
	v_cmp_lt_u32_e64 s3, 0x7f, v0
	;; [unrolled: 1-line block ×3, first 2 shown]
	v_lshrrev_b32_e64 v2, v2, -1
	v_add_nc_u32_e32 v3, 0, v3
	v_cmp_lt_u32_e64 s5, 0xbf, v0
	v_cmp_lt_u32_e64 s6, 0xdf, v0
	;; [unrolled: 1-line block ×26, first 2 shown]
	v_mov_b32_e32 v4, 0
	s_mov_b32 s35, 0
	v_cmp_eq_u32_e32 vcc_lo, 0x3ff, v0
	s_waitcnt lgkmcnt(0)
	s_barrier
	buffer_gl0_inv
	s_branch .LBB36_23
.LBB36_22:                              ;   in Loop: Header=BB36_23 Depth=1
	s_or_b32 exec_lo, exec_lo, s31
	s_waitcnt lgkmcnt(0)
	s_barrier
	buffer_gl0_inv
	ds_read_b32 v5, v1 offset:16508
	v_add_nc_u32_e32 v8, 0x400, v8
	v_add_nc_u32_e32 v7, 0x1000, v7
	v_cmp_lt_u32_e64 s31, 0xbff, v8
	s_or_b32 s35, s31, s35
	s_waitcnt lgkmcnt(0)
	v_add_nc_u32_e32 v4, v5, v4
	s_andn2_b32 exec_lo, exec_lo, s35
	s_cbranch_execz .LBB36_98
.LBB36_23:                              ; =>This Inner Loop Header: Depth=1
	ds_read_b32 v5, v7
	s_waitcnt lgkmcnt(0)
	s_barrier
	buffer_gl0_inv
	v_cmp_gt_i32_e64 s31, s33, v5
	v_and_b32_e32 v6, s31, v2
	s_bcnt1_i32_b32 s40, s31
	v_mov_b32_e32 v9, s40
	v_bcnt_u32_b32 v6, v6, 0
	ds_write_b32 v3, v9 offset:16384
	s_waitcnt lgkmcnt(0)
	s_barrier
	buffer_gl0_inv
	s_and_saveexec_b32 s40, s0
	s_cbranch_execnz .LBB36_56
; %bb.24:                               ;   in Loop: Header=BB36_23 Depth=1
	s_or_b32 exec_lo, exec_lo, s40
	s_and_saveexec_b32 s40, s1
	s_cbranch_execnz .LBB36_57
.LBB36_25:                              ;   in Loop: Header=BB36_23 Depth=1
	s_or_b32 exec_lo, exec_lo, s40
	s_and_saveexec_b32 s40, s2
	s_cbranch_execnz .LBB36_58
.LBB36_26:                              ;   in Loop: Header=BB36_23 Depth=1
	s_or_b32 exec_lo, exec_lo, s40
	s_and_saveexec_b32 s40, s3
	s_cbranch_execnz .LBB36_59
.LBB36_27:                              ;   in Loop: Header=BB36_23 Depth=1
	s_or_b32 exec_lo, exec_lo, s40
	s_and_saveexec_b32 s40, s4
	s_cbranch_execnz .LBB36_60
.LBB36_28:                              ;   in Loop: Header=BB36_23 Depth=1
	s_or_b32 exec_lo, exec_lo, s40
	s_and_saveexec_b32 s40, s5
	s_cbranch_execnz .LBB36_61
.LBB36_29:                              ;   in Loop: Header=BB36_23 Depth=1
	s_or_b32 exec_lo, exec_lo, s40
	s_and_saveexec_b32 s40, s6
	s_cbranch_execnz .LBB36_62
.LBB36_30:                              ;   in Loop: Header=BB36_23 Depth=1
	s_or_b32 exec_lo, exec_lo, s40
	s_and_saveexec_b32 s40, s7
	s_cbranch_execnz .LBB36_63
.LBB36_31:                              ;   in Loop: Header=BB36_23 Depth=1
	s_or_b32 exec_lo, exec_lo, s40
	s_and_saveexec_b32 s40, s8
	s_cbranch_execnz .LBB36_64
.LBB36_32:                              ;   in Loop: Header=BB36_23 Depth=1
	s_or_b32 exec_lo, exec_lo, s40
	s_and_saveexec_b32 s40, s9
	s_cbranch_execnz .LBB36_65
.LBB36_33:                              ;   in Loop: Header=BB36_23 Depth=1
	s_or_b32 exec_lo, exec_lo, s40
	s_and_saveexec_b32 s40, s10
	s_cbranch_execnz .LBB36_66
.LBB36_34:                              ;   in Loop: Header=BB36_23 Depth=1
	s_or_b32 exec_lo, exec_lo, s40
	s_and_saveexec_b32 s40, s11
	s_cbranch_execnz .LBB36_67
.LBB36_35:                              ;   in Loop: Header=BB36_23 Depth=1
	s_or_b32 exec_lo, exec_lo, s40
	s_and_saveexec_b32 s40, s12
	s_cbranch_execnz .LBB36_68
.LBB36_36:                              ;   in Loop: Header=BB36_23 Depth=1
	s_or_b32 exec_lo, exec_lo, s40
	s_and_saveexec_b32 s40, s13
	s_cbranch_execnz .LBB36_69
.LBB36_37:                              ;   in Loop: Header=BB36_23 Depth=1
	s_or_b32 exec_lo, exec_lo, s40
	s_and_saveexec_b32 s40, s14
	s_cbranch_execnz .LBB36_70
.LBB36_38:                              ;   in Loop: Header=BB36_23 Depth=1
	s_or_b32 exec_lo, exec_lo, s40
	s_and_saveexec_b32 s40, s15
	s_cbranch_execnz .LBB36_71
.LBB36_39:                              ;   in Loop: Header=BB36_23 Depth=1
	s_or_b32 exec_lo, exec_lo, s40
	s_and_saveexec_b32 s40, s16
	s_cbranch_execnz .LBB36_72
.LBB36_40:                              ;   in Loop: Header=BB36_23 Depth=1
	s_or_b32 exec_lo, exec_lo, s40
	s_and_saveexec_b32 s40, s17
	s_cbranch_execnz .LBB36_73
.LBB36_41:                              ;   in Loop: Header=BB36_23 Depth=1
	s_or_b32 exec_lo, exec_lo, s40
	s_and_saveexec_b32 s40, s18
	s_cbranch_execnz .LBB36_74
.LBB36_42:                              ;   in Loop: Header=BB36_23 Depth=1
	s_or_b32 exec_lo, exec_lo, s40
	s_and_saveexec_b32 s40, s19
	s_cbranch_execnz .LBB36_75
.LBB36_43:                              ;   in Loop: Header=BB36_23 Depth=1
	s_or_b32 exec_lo, exec_lo, s40
	s_and_saveexec_b32 s40, s20
	s_cbranch_execnz .LBB36_76
.LBB36_44:                              ;   in Loop: Header=BB36_23 Depth=1
	s_or_b32 exec_lo, exec_lo, s40
	s_and_saveexec_b32 s40, s21
	s_cbranch_execnz .LBB36_77
.LBB36_45:                              ;   in Loop: Header=BB36_23 Depth=1
	s_or_b32 exec_lo, exec_lo, s40
	s_and_saveexec_b32 s40, s22
	s_cbranch_execnz .LBB36_78
.LBB36_46:                              ;   in Loop: Header=BB36_23 Depth=1
	s_or_b32 exec_lo, exec_lo, s40
	s_and_saveexec_b32 s40, s23
	s_cbranch_execnz .LBB36_79
.LBB36_47:                              ;   in Loop: Header=BB36_23 Depth=1
	s_or_b32 exec_lo, exec_lo, s40
	s_and_saveexec_b32 s40, s24
	s_cbranch_execnz .LBB36_80
.LBB36_48:                              ;   in Loop: Header=BB36_23 Depth=1
	s_or_b32 exec_lo, exec_lo, s40
	s_and_saveexec_b32 s40, s25
	s_cbranch_execnz .LBB36_81
.LBB36_49:                              ;   in Loop: Header=BB36_23 Depth=1
	s_or_b32 exec_lo, exec_lo, s40
	s_and_saveexec_b32 s40, s26
	s_cbranch_execnz .LBB36_82
.LBB36_50:                              ;   in Loop: Header=BB36_23 Depth=1
	s_or_b32 exec_lo, exec_lo, s40
	s_and_saveexec_b32 s40, s27
	s_cbranch_execnz .LBB36_83
.LBB36_51:                              ;   in Loop: Header=BB36_23 Depth=1
	s_or_b32 exec_lo, exec_lo, s40
	s_and_saveexec_b32 s40, s28
	s_cbranch_execnz .LBB36_84
.LBB36_52:                              ;   in Loop: Header=BB36_23 Depth=1
	s_or_b32 exec_lo, exec_lo, s40
	s_and_saveexec_b32 s40, s29
	s_cbranch_execnz .LBB36_85
.LBB36_53:                              ;   in Loop: Header=BB36_23 Depth=1
	s_or_b32 exec_lo, exec_lo, s40
	s_and_saveexec_b32 s40, s30
	s_cbranch_execnz .LBB36_86
.LBB36_54:                              ;   in Loop: Header=BB36_23 Depth=1
	s_or_b32 exec_lo, exec_lo, s40
	s_and_saveexec_b32 s40, s31
	s_cbranch_execnz .LBB36_87
.LBB36_55:                              ;   in Loop: Header=BB36_23 Depth=1
	s_or_b32 exec_lo, exec_lo, s40
	s_and_saveexec_b32 s31, vcc_lo
	s_cbranch_execz .LBB36_22
	s_branch .LBB36_88
.LBB36_56:                              ;   in Loop: Header=BB36_23 Depth=1
	ds_read_b32 v9, v1 offset:16384
	s_waitcnt lgkmcnt(0)
	v_add_nc_u32_e32 v6, v9, v6
	s_or_b32 exec_lo, exec_lo, s40
	s_and_saveexec_b32 s40, s1
	s_cbranch_execz .LBB36_25
.LBB36_57:                              ;   in Loop: Header=BB36_23 Depth=1
	ds_read_b32 v9, v1 offset:16388
	s_waitcnt lgkmcnt(0)
	v_add_nc_u32_e32 v6, v9, v6
	s_or_b32 exec_lo, exec_lo, s40
	s_and_saveexec_b32 s40, s2
	s_cbranch_execz .LBB36_26
.LBB36_58:                              ;   in Loop: Header=BB36_23 Depth=1
	ds_read_b32 v9, v1 offset:16392
	s_waitcnt lgkmcnt(0)
	v_add_nc_u32_e32 v6, v9, v6
	s_or_b32 exec_lo, exec_lo, s40
	s_and_saveexec_b32 s40, s3
	s_cbranch_execz .LBB36_27
.LBB36_59:                              ;   in Loop: Header=BB36_23 Depth=1
	ds_read_b32 v9, v1 offset:16396
	s_waitcnt lgkmcnt(0)
	v_add_nc_u32_e32 v6, v9, v6
	s_or_b32 exec_lo, exec_lo, s40
	s_and_saveexec_b32 s40, s4
	s_cbranch_execz .LBB36_28
.LBB36_60:                              ;   in Loop: Header=BB36_23 Depth=1
	ds_read_b32 v9, v1 offset:16400
	s_waitcnt lgkmcnt(0)
	v_add_nc_u32_e32 v6, v9, v6
	s_or_b32 exec_lo, exec_lo, s40
	s_and_saveexec_b32 s40, s5
	s_cbranch_execz .LBB36_29
.LBB36_61:                              ;   in Loop: Header=BB36_23 Depth=1
	ds_read_b32 v9, v1 offset:16404
	s_waitcnt lgkmcnt(0)
	v_add_nc_u32_e32 v6, v9, v6
	s_or_b32 exec_lo, exec_lo, s40
	s_and_saveexec_b32 s40, s6
	s_cbranch_execz .LBB36_30
.LBB36_62:                              ;   in Loop: Header=BB36_23 Depth=1
	ds_read_b32 v9, v1 offset:16408
	s_waitcnt lgkmcnt(0)
	v_add_nc_u32_e32 v6, v9, v6
	s_or_b32 exec_lo, exec_lo, s40
	s_and_saveexec_b32 s40, s7
	s_cbranch_execz .LBB36_31
.LBB36_63:                              ;   in Loop: Header=BB36_23 Depth=1
	ds_read_b32 v9, v1 offset:16412
	s_waitcnt lgkmcnt(0)
	v_add_nc_u32_e32 v6, v9, v6
	s_or_b32 exec_lo, exec_lo, s40
	s_and_saveexec_b32 s40, s8
	s_cbranch_execz .LBB36_32
.LBB36_64:                              ;   in Loop: Header=BB36_23 Depth=1
	ds_read_b32 v9, v1 offset:16416
	s_waitcnt lgkmcnt(0)
	v_add_nc_u32_e32 v6, v9, v6
	s_or_b32 exec_lo, exec_lo, s40
	s_and_saveexec_b32 s40, s9
	s_cbranch_execz .LBB36_33
.LBB36_65:                              ;   in Loop: Header=BB36_23 Depth=1
	ds_read_b32 v9, v1 offset:16420
	s_waitcnt lgkmcnt(0)
	v_add_nc_u32_e32 v6, v9, v6
	s_or_b32 exec_lo, exec_lo, s40
	s_and_saveexec_b32 s40, s10
	s_cbranch_execz .LBB36_34
.LBB36_66:                              ;   in Loop: Header=BB36_23 Depth=1
	ds_read_b32 v9, v1 offset:16424
	s_waitcnt lgkmcnt(0)
	v_add_nc_u32_e32 v6, v9, v6
	s_or_b32 exec_lo, exec_lo, s40
	s_and_saveexec_b32 s40, s11
	s_cbranch_execz .LBB36_35
.LBB36_67:                              ;   in Loop: Header=BB36_23 Depth=1
	ds_read_b32 v9, v1 offset:16428
	s_waitcnt lgkmcnt(0)
	v_add_nc_u32_e32 v6, v9, v6
	s_or_b32 exec_lo, exec_lo, s40
	s_and_saveexec_b32 s40, s12
	s_cbranch_execz .LBB36_36
.LBB36_68:                              ;   in Loop: Header=BB36_23 Depth=1
	ds_read_b32 v9, v1 offset:16432
	s_waitcnt lgkmcnt(0)
	v_add_nc_u32_e32 v6, v9, v6
	s_or_b32 exec_lo, exec_lo, s40
	s_and_saveexec_b32 s40, s13
	s_cbranch_execz .LBB36_37
.LBB36_69:                              ;   in Loop: Header=BB36_23 Depth=1
	ds_read_b32 v9, v1 offset:16436
	s_waitcnt lgkmcnt(0)
	v_add_nc_u32_e32 v6, v9, v6
	s_or_b32 exec_lo, exec_lo, s40
	s_and_saveexec_b32 s40, s14
	s_cbranch_execz .LBB36_38
.LBB36_70:                              ;   in Loop: Header=BB36_23 Depth=1
	ds_read_b32 v9, v1 offset:16440
	s_waitcnt lgkmcnt(0)
	v_add_nc_u32_e32 v6, v9, v6
	s_or_b32 exec_lo, exec_lo, s40
	s_and_saveexec_b32 s40, s15
	s_cbranch_execz .LBB36_39
.LBB36_71:                              ;   in Loop: Header=BB36_23 Depth=1
	ds_read_b32 v9, v1 offset:16444
	s_waitcnt lgkmcnt(0)
	v_add_nc_u32_e32 v6, v9, v6
	s_or_b32 exec_lo, exec_lo, s40
	s_and_saveexec_b32 s40, s16
	s_cbranch_execz .LBB36_40
.LBB36_72:                              ;   in Loop: Header=BB36_23 Depth=1
	ds_read_b32 v9, v1 offset:16448
	s_waitcnt lgkmcnt(0)
	v_add_nc_u32_e32 v6, v9, v6
	s_or_b32 exec_lo, exec_lo, s40
	s_and_saveexec_b32 s40, s17
	s_cbranch_execz .LBB36_41
.LBB36_73:                              ;   in Loop: Header=BB36_23 Depth=1
	ds_read_b32 v9, v1 offset:16452
	s_waitcnt lgkmcnt(0)
	v_add_nc_u32_e32 v6, v9, v6
	s_or_b32 exec_lo, exec_lo, s40
	s_and_saveexec_b32 s40, s18
	s_cbranch_execz .LBB36_42
.LBB36_74:                              ;   in Loop: Header=BB36_23 Depth=1
	ds_read_b32 v9, v1 offset:16456
	s_waitcnt lgkmcnt(0)
	v_add_nc_u32_e32 v6, v9, v6
	s_or_b32 exec_lo, exec_lo, s40
	s_and_saveexec_b32 s40, s19
	s_cbranch_execz .LBB36_43
.LBB36_75:                              ;   in Loop: Header=BB36_23 Depth=1
	ds_read_b32 v9, v1 offset:16460
	s_waitcnt lgkmcnt(0)
	v_add_nc_u32_e32 v6, v9, v6
	s_or_b32 exec_lo, exec_lo, s40
	s_and_saveexec_b32 s40, s20
	s_cbranch_execz .LBB36_44
.LBB36_76:                              ;   in Loop: Header=BB36_23 Depth=1
	ds_read_b32 v9, v1 offset:16464
	s_waitcnt lgkmcnt(0)
	v_add_nc_u32_e32 v6, v9, v6
	s_or_b32 exec_lo, exec_lo, s40
	s_and_saveexec_b32 s40, s21
	s_cbranch_execz .LBB36_45
.LBB36_77:                              ;   in Loop: Header=BB36_23 Depth=1
	ds_read_b32 v9, v1 offset:16468
	s_waitcnt lgkmcnt(0)
	v_add_nc_u32_e32 v6, v9, v6
	s_or_b32 exec_lo, exec_lo, s40
	s_and_saveexec_b32 s40, s22
	s_cbranch_execz .LBB36_46
.LBB36_78:                              ;   in Loop: Header=BB36_23 Depth=1
	ds_read_b32 v9, v1 offset:16472
	s_waitcnt lgkmcnt(0)
	v_add_nc_u32_e32 v6, v9, v6
	s_or_b32 exec_lo, exec_lo, s40
	s_and_saveexec_b32 s40, s23
	s_cbranch_execz .LBB36_47
.LBB36_79:                              ;   in Loop: Header=BB36_23 Depth=1
	ds_read_b32 v9, v1 offset:16476
	s_waitcnt lgkmcnt(0)
	v_add_nc_u32_e32 v6, v9, v6
	s_or_b32 exec_lo, exec_lo, s40
	s_and_saveexec_b32 s40, s24
	s_cbranch_execz .LBB36_48
.LBB36_80:                              ;   in Loop: Header=BB36_23 Depth=1
	ds_read_b32 v9, v1 offset:16480
	s_waitcnt lgkmcnt(0)
	v_add_nc_u32_e32 v6, v9, v6
	s_or_b32 exec_lo, exec_lo, s40
	s_and_saveexec_b32 s40, s25
	s_cbranch_execz .LBB36_49
.LBB36_81:                              ;   in Loop: Header=BB36_23 Depth=1
	ds_read_b32 v9, v1 offset:16484
	s_waitcnt lgkmcnt(0)
	v_add_nc_u32_e32 v6, v9, v6
	s_or_b32 exec_lo, exec_lo, s40
	s_and_saveexec_b32 s40, s26
	s_cbranch_execz .LBB36_50
.LBB36_82:                              ;   in Loop: Header=BB36_23 Depth=1
	ds_read_b32 v9, v1 offset:16488
	s_waitcnt lgkmcnt(0)
	v_add_nc_u32_e32 v6, v9, v6
	s_or_b32 exec_lo, exec_lo, s40
	s_and_saveexec_b32 s40, s27
	s_cbranch_execz .LBB36_51
.LBB36_83:                              ;   in Loop: Header=BB36_23 Depth=1
	ds_read_b32 v9, v1 offset:16492
	s_waitcnt lgkmcnt(0)
	v_add_nc_u32_e32 v6, v9, v6
	s_or_b32 exec_lo, exec_lo, s40
	s_and_saveexec_b32 s40, s28
	s_cbranch_execz .LBB36_52
.LBB36_84:                              ;   in Loop: Header=BB36_23 Depth=1
	ds_read_b32 v9, v1 offset:16496
	s_waitcnt lgkmcnt(0)
	v_add_nc_u32_e32 v6, v9, v6
	s_or_b32 exec_lo, exec_lo, s40
	s_and_saveexec_b32 s40, s29
	s_cbranch_execz .LBB36_53
.LBB36_85:                              ;   in Loop: Header=BB36_23 Depth=1
	ds_read_b32 v9, v1 offset:16500
	s_waitcnt lgkmcnt(0)
	v_add_nc_u32_e32 v6, v9, v6
	s_or_b32 exec_lo, exec_lo, s40
	s_and_saveexec_b32 s40, s30
	s_cbranch_execz .LBB36_54
.LBB36_86:                              ;   in Loop: Header=BB36_23 Depth=1
	ds_read_b32 v9, v1 offset:16504
	s_waitcnt lgkmcnt(0)
	v_add_nc_u32_e32 v6, v9, v6
	s_or_b32 exec_lo, exec_lo, s40
	s_and_saveexec_b32 s40, s31
	s_cbranch_execz .LBB36_55
.LBB36_87:                              ;   in Loop: Header=BB36_23 Depth=1
	v_lshlrev_b32_e32 v9, 2, v4
	v_lshlrev_b32_e32 v10, 2, v6
	v_add_nc_u32_e32 v9, 0, v9
	v_add3_u32 v9, v9, v10, -4
	ds_write_b32 v9, v5
	s_or_b32 exec_lo, exec_lo, s40
	s_and_saveexec_b32 s31, vcc_lo
	s_cbranch_execz .LBB36_22
.LBB36_88:                              ;   in Loop: Header=BB36_23 Depth=1
	ds_write_b32 v1, v6 offset:16508
	s_branch .LBB36_22
.LBB36_89:                              ;   in Loop: Header=BB36_90 Depth=1
	s_inst_prefetch 0x2
	s_or_b32 exec_lo, exec_lo, s4
	v_add_co_u32 v1, vcc_lo, 0x400, v1
	v_add_co_ci_u32_e64 v2, null, 0, v2, vcc_lo
	v_cmp_le_i64_e32 vcc_lo, s[0:1], v[1:2]
	s_or_b32 s3, vcc_lo, s3
	s_andn2_b32 exec_lo, exec_lo, s3
	s_cbranch_execz .LBB36_20
.LBB36_90:                              ; =>This Loop Header: Depth=1
                                        ;     Child Loop BB36_93 Depth 2
	v_lshlrev_b64 v[3:4], 2, v[1:2]
	s_mov_b32 s4, 0
                                        ; implicit-def: $sgpr5
	v_add_co_u32 v3, vcc_lo, s14, v3
	v_add_co_ci_u32_e64 v4, null, s15, v4, vcc_lo
	global_load_dword v3, v[3:4], off
	s_waitcnt vmcnt(0)
	v_subrev_nc_u32_e32 v3, s43, v3
	v_mul_lo_u32 v4, 0x89, v3
	v_and_b32_e32 v4, 0xfff, v4
	s_inst_prefetch 0x1
	s_branch .LBB36_93
	.p2align	6
.LBB36_91:                              ;   in Loop: Header=BB36_93 Depth=2
	s_or_b32 exec_lo, exec_lo, s7
	s_andn2_b32 s5, s5, exec_lo
	s_and_b32 s7, s8, exec_lo
	s_or_b32 s5, s5, s7
.LBB36_92:                              ;   in Loop: Header=BB36_93 Depth=2
	s_or_b32 exec_lo, exec_lo, s6
	s_xor_b32 s6, s5, -1
	s_and_b32 s6, exec_lo, s6
	s_or_b32 s4, s6, s4
	s_andn2_b32 exec_lo, exec_lo, s4
	s_cbranch_execz .LBB36_89
.LBB36_93:                              ;   Parent Loop BB36_90 Depth=1
                                        ; =>  This Inner Loop Header: Depth=2
	v_lshl_add_u32 v5, v4, 2, 0
	s_andn2_b32 s5, s5, exec_lo
	s_mov_b32 s6, exec_lo
	ds_read_b32 v6, v5
	s_waitcnt lgkmcnt(0)
	v_cmpx_ne_u32_e64 v6, v3
	s_cbranch_execz .LBB36_92
; %bb.94:                               ;   in Loop: Header=BB36_93 Depth=2
	s_mov_b32 s7, exec_lo
	v_cmpx_ne_u32_e64 s33, v6
	s_xor_b32 s7, exec_lo, s7
; %bb.95:                               ;   in Loop: Header=BB36_93 Depth=2
	v_add_nc_u32_e32 v4, 1, v4
                                        ; implicit-def: $vgpr5
	v_and_b32_e32 v4, 0xfff, v4
; %bb.96:                               ;   in Loop: Header=BB36_93 Depth=2
	s_or_saveexec_b32 s7, s7
	s_mov_b32 s8, -1
	s_xor_b32 exec_lo, exec_lo, s7
	s_cbranch_execz .LBB36_91
; %bb.97:                               ;   in Loop: Header=BB36_93 Depth=2
	v_mov_b32_e32 v6, s33
	ds_cmpst_rtn_b32 v5, v5, v6, v3
	s_waitcnt lgkmcnt(0)
	v_cmp_ne_u32_e32 vcc_lo, s33, v5
	s_orn2_b32 s8, vcc_lo, exec_lo
	s_branch .LBB36_91
.LBB36_98:
	s_or_b32 exec_lo, exec_lo, s35
	s_ashr_i32 s35, s34, 31
	s_mov_b32 s4, exec_lo
	s_lshl_b64 s[0:1], s[34:35], 3
	s_add_u32 s0, s36, s0
	s_addc_u32 s1, s37, s1
	s_load_dwordx4 s[0:3], s[0:1], 0x0
	s_waitcnt lgkmcnt(0)
	s_sub_i32 s3, s2, s0
	v_cmpx_gt_i32_e64 s3, v0
	s_cbranch_execz .LBB36_108
; %bb.99:
	s_sub_u32 s4, s0, s42
	s_subb_u32 s5, s1, 0
	s_sub_i32 s0, s0, s2
	s_and_b32 s1, s3, 7
	s_cmp_lt_u32 s0, -7
	s_mov_b32 s8, 0
	s_cselect_b32 s2, -1, 0
	s_and_b32 s6, s3, -8
	s_cmp_lg_u32 s1, 0
	s_cselect_b32 s7, -1, 0
	s_branch .LBB36_101
.LBB36_100:                             ;   in Loop: Header=BB36_101 Depth=1
	v_lshlrev_b64 v[1:2], 2, v[1:2]
	v_add_nc_u32_e32 v0, 0x400, v0
	s_waitcnt lgkmcnt(0)
	v_add_nc_u32_e32 v3, s42, v3
	v_cmp_le_i32_e32 vcc_lo, s3, v0
	v_add_co_u32 v1, s0, s38, v1
	v_add_co_ci_u32_e64 v2, null, s39, v2, s0
	s_or_b32 s8, vcc_lo, s8
	global_store_dword v[1:2], v3, off
	s_andn2_b32 exec_lo, exec_lo, s8
	s_cbranch_execz .LBB36_108
.LBB36_101:                             ; =>This Loop Header: Depth=1
                                        ;     Child Loop BB36_103 Depth 2
                                        ;     Child Loop BB36_107 Depth 2
	v_lshl_add_u32 v1, v0, 2, 0
	s_andn2_b32 vcc_lo, exec_lo, s2
	s_mov_b32 s0, 0
	ds_read_b32 v3, v1
	v_mov_b32_e32 v1, s4
	v_mov_b32_e32 v2, s5
	s_cbranch_vccnz .LBB36_105
; %bb.102:                              ;   in Loop: Header=BB36_101 Depth=1
	v_mov_b32_e32 v1, s4
	v_mov_b32_e32 v2, s5
	s_mov_b32 s9, 0
	s_mov_b32 s10, 0
.LBB36_103:                             ;   Parent Loop BB36_101 Depth=1
                                        ; =>  This Inner Loop Header: Depth=2
	v_mov_b32_e32 v10, s10
	s_add_i32 s9, s9, 8
	s_add_i32 s10, s10, 32
	s_cmp_eq_u32 s6, s9
	ds_read2_b32 v[4:5], v10 offset1:1
	ds_read2_b32 v[6:7], v10 offset0:2 offset1:3
	ds_read2_b32 v[8:9], v10 offset0:4 offset1:5
	;; [unrolled: 1-line block ×3, first 2 shown]
	s_waitcnt lgkmcnt(3)
	v_cmp_gt_i32_e32 vcc_lo, v3, v4
	v_cndmask_b32_e64 v4, 0, 1, vcc_lo
	v_cmp_gt_i32_e32 vcc_lo, v3, v5
	v_cndmask_b32_e64 v5, 0, 1, vcc_lo
	s_waitcnt lgkmcnt(2)
	v_cmp_gt_i32_e32 vcc_lo, v3, v6
	v_cndmask_b32_e64 v6, 0, 1, vcc_lo
	v_cmp_gt_i32_e32 vcc_lo, v3, v7
	v_cndmask_b32_e64 v7, 0, 1, vcc_lo
	s_waitcnt lgkmcnt(1)
	v_cmp_gt_i32_e32 vcc_lo, v3, v8
	v_cndmask_b32_e64 v8, 0, 1, vcc_lo
	v_add_co_u32 v1, vcc_lo, v1, v4
	v_add_co_ci_u32_e64 v2, null, 0, v2, vcc_lo
	v_cmp_gt_i32_e32 vcc_lo, v3, v9
	v_add_co_u32 v1, s0, v1, v5
	v_add_co_ci_u32_e64 v2, null, 0, v2, s0
	v_cndmask_b32_e64 v4, 0, 1, vcc_lo
	v_add_co_u32 v1, vcc_lo, v1, v6
	v_add_co_ci_u32_e64 v2, null, 0, v2, vcc_lo
	s_waitcnt lgkmcnt(0)
	v_cmp_gt_i32_e32 vcc_lo, v3, v10
	v_add_co_u32 v1, s0, v1, v7
	v_add_co_ci_u32_e64 v2, null, 0, v2, s0
	v_cndmask_b32_e64 v5, 0, 1, vcc_lo
	v_add_co_u32 v1, vcc_lo, v1, v8
	v_add_co_ci_u32_e64 v2, null, 0, v2, vcc_lo
	v_cmp_gt_i32_e32 vcc_lo, v3, v11
	v_add_co_u32 v1, s0, v1, v4
	v_add_co_ci_u32_e64 v2, null, 0, v2, s0
	v_cndmask_b32_e64 v4, 0, 1, vcc_lo
	v_add_co_u32 v1, vcc_lo, v1, v5
	v_add_co_ci_u32_e64 v2, null, 0, v2, vcc_lo
	v_add_co_u32 v1, vcc_lo, v1, v4
	v_add_co_ci_u32_e64 v2, null, 0, v2, vcc_lo
	s_cbranch_scc0 .LBB36_103
; %bb.104:                              ;   in Loop: Header=BB36_101 Depth=1
	s_mov_b32 s0, s6
.LBB36_105:                             ;   in Loop: Header=BB36_101 Depth=1
	s_andn2_b32 vcc_lo, exec_lo, s7
	s_cbranch_vccnz .LBB36_100
; %bb.106:                              ;   in Loop: Header=BB36_101 Depth=1
	s_lshl_b32 s0, s0, 2
	s_mov_b32 s9, s1
	s_add_i32 s0, s0, 0
.LBB36_107:                             ;   Parent Loop BB36_101 Depth=1
                                        ; =>  This Inner Loop Header: Depth=2
	v_mov_b32_e32 v4, s0
	s_add_i32 s9, s9, -1
	s_add_i32 s0, s0, 4
	s_cmp_lg_u32 s9, 0
	ds_read_b32 v4, v4
	s_waitcnt lgkmcnt(0)
	v_cmp_gt_i32_e32 vcc_lo, v3, v4
	v_cndmask_b32_e64 v4, 0, 1, vcc_lo
	v_add_co_u32 v1, vcc_lo, v1, v4
	v_add_co_ci_u32_e64 v2, null, 0, v2, vcc_lo
	s_cbranch_scc1 .LBB36_107
	s_branch .LBB36_100
.LBB36_108:
	s_endpgm
	.section	.rodata,"a",@progbits
	.p2align	6, 0x0
	.amdhsa_kernel _ZN9rocsparseL35csrgemm_symbolic_fill_block_per_rowILj1024ELj64ELj4096ELj137ELj32EliEEvT5_PKS1_S3_PKT4_S3_S6_S3_S6_S3_S6_PS1_21rocsparse_index_base_S8_S8_S8_bb
		.amdhsa_group_segment_fixed_size 0
		.amdhsa_private_segment_fixed_size 0
		.amdhsa_kernarg_size 108
		.amdhsa_user_sgpr_count 6
		.amdhsa_user_sgpr_private_segment_buffer 1
		.amdhsa_user_sgpr_dispatch_ptr 0
		.amdhsa_user_sgpr_queue_ptr 0
		.amdhsa_user_sgpr_kernarg_segment_ptr 1
		.amdhsa_user_sgpr_dispatch_id 0
		.amdhsa_user_sgpr_flat_scratch_init 0
		.amdhsa_user_sgpr_private_segment_size 0
		.amdhsa_wavefront_size32 1
		.amdhsa_uses_dynamic_stack 0
		.amdhsa_system_sgpr_private_segment_wavefront_offset 0
		.amdhsa_system_sgpr_workgroup_id_x 1
		.amdhsa_system_sgpr_workgroup_id_y 0
		.amdhsa_system_sgpr_workgroup_id_z 0
		.amdhsa_system_sgpr_workgroup_info 0
		.amdhsa_system_vgpr_workitem_id 0
		.amdhsa_next_free_vgpr 15
		.amdhsa_next_free_sgpr 44
		.amdhsa_reserve_vcc 1
		.amdhsa_reserve_flat_scratch 0
		.amdhsa_float_round_mode_32 0
		.amdhsa_float_round_mode_16_64 0
		.amdhsa_float_denorm_mode_32 3
		.amdhsa_float_denorm_mode_16_64 3
		.amdhsa_dx10_clamp 1
		.amdhsa_ieee_mode 1
		.amdhsa_fp16_overflow 0
		.amdhsa_workgroup_processor_mode 1
		.amdhsa_memory_ordered 1
		.amdhsa_forward_progress 1
		.amdhsa_shared_vgpr_count 0
		.amdhsa_exception_fp_ieee_invalid_op 0
		.amdhsa_exception_fp_denorm_src 0
		.amdhsa_exception_fp_ieee_div_zero 0
		.amdhsa_exception_fp_ieee_overflow 0
		.amdhsa_exception_fp_ieee_underflow 0
		.amdhsa_exception_fp_ieee_inexact 0
		.amdhsa_exception_int_div_zero 0
	.end_amdhsa_kernel
	.section	.text._ZN9rocsparseL35csrgemm_symbolic_fill_block_per_rowILj1024ELj64ELj4096ELj137ELj32EliEEvT5_PKS1_S3_PKT4_S3_S6_S3_S6_S3_S6_PS1_21rocsparse_index_base_S8_S8_S8_bb,"axG",@progbits,_ZN9rocsparseL35csrgemm_symbolic_fill_block_per_rowILj1024ELj64ELj4096ELj137ELj32EliEEvT5_PKS1_S3_PKT4_S3_S6_S3_S6_S3_S6_PS1_21rocsparse_index_base_S8_S8_S8_bb,comdat
.Lfunc_end36:
	.size	_ZN9rocsparseL35csrgemm_symbolic_fill_block_per_rowILj1024ELj64ELj4096ELj137ELj32EliEEvT5_PKS1_S3_PKT4_S3_S6_S3_S6_S3_S6_PS1_21rocsparse_index_base_S8_S8_S8_bb, .Lfunc_end36-_ZN9rocsparseL35csrgemm_symbolic_fill_block_per_rowILj1024ELj64ELj4096ELj137ELj32EliEEvT5_PKS1_S3_PKT4_S3_S6_S3_S6_S3_S6_PS1_21rocsparse_index_base_S8_S8_S8_bb
                                        ; -- End function
	.set _ZN9rocsparseL35csrgemm_symbolic_fill_block_per_rowILj1024ELj64ELj4096ELj137ELj32EliEEvT5_PKS1_S3_PKT4_S3_S6_S3_S6_S3_S6_PS1_21rocsparse_index_base_S8_S8_S8_bb.num_vgpr, 15
	.set _ZN9rocsparseL35csrgemm_symbolic_fill_block_per_rowILj1024ELj64ELj4096ELj137ELj32EliEEvT5_PKS1_S3_PKT4_S3_S6_S3_S6_S3_S6_PS1_21rocsparse_index_base_S8_S8_S8_bb.num_agpr, 0
	.set _ZN9rocsparseL35csrgemm_symbolic_fill_block_per_rowILj1024ELj64ELj4096ELj137ELj32EliEEvT5_PKS1_S3_PKT4_S3_S6_S3_S6_S3_S6_PS1_21rocsparse_index_base_S8_S8_S8_bb.numbered_sgpr, 44
	.set _ZN9rocsparseL35csrgemm_symbolic_fill_block_per_rowILj1024ELj64ELj4096ELj137ELj32EliEEvT5_PKS1_S3_PKT4_S3_S6_S3_S6_S3_S6_PS1_21rocsparse_index_base_S8_S8_S8_bb.num_named_barrier, 0
	.set _ZN9rocsparseL35csrgemm_symbolic_fill_block_per_rowILj1024ELj64ELj4096ELj137ELj32EliEEvT5_PKS1_S3_PKT4_S3_S6_S3_S6_S3_S6_PS1_21rocsparse_index_base_S8_S8_S8_bb.private_seg_size, 0
	.set _ZN9rocsparseL35csrgemm_symbolic_fill_block_per_rowILj1024ELj64ELj4096ELj137ELj32EliEEvT5_PKS1_S3_PKT4_S3_S6_S3_S6_S3_S6_PS1_21rocsparse_index_base_S8_S8_S8_bb.uses_vcc, 1
	.set _ZN9rocsparseL35csrgemm_symbolic_fill_block_per_rowILj1024ELj64ELj4096ELj137ELj32EliEEvT5_PKS1_S3_PKT4_S3_S6_S3_S6_S3_S6_PS1_21rocsparse_index_base_S8_S8_S8_bb.uses_flat_scratch, 0
	.set _ZN9rocsparseL35csrgemm_symbolic_fill_block_per_rowILj1024ELj64ELj4096ELj137ELj32EliEEvT5_PKS1_S3_PKT4_S3_S6_S3_S6_S3_S6_PS1_21rocsparse_index_base_S8_S8_S8_bb.has_dyn_sized_stack, 0
	.set _ZN9rocsparseL35csrgemm_symbolic_fill_block_per_rowILj1024ELj64ELj4096ELj137ELj32EliEEvT5_PKS1_S3_PKT4_S3_S6_S3_S6_S3_S6_PS1_21rocsparse_index_base_S8_S8_S8_bb.has_recursion, 0
	.set _ZN9rocsparseL35csrgemm_symbolic_fill_block_per_rowILj1024ELj64ELj4096ELj137ELj32EliEEvT5_PKS1_S3_PKT4_S3_S6_S3_S6_S3_S6_PS1_21rocsparse_index_base_S8_S8_S8_bb.has_indirect_call, 0
	.section	.AMDGPU.csdata,"",@progbits
; Kernel info:
; codeLenInByte = 3692
; TotalNumSgprs: 46
; NumVgprs: 15
; ScratchSize: 0
; MemoryBound: 0
; FloatMode: 240
; IeeeMode: 1
; LDSByteSize: 0 bytes/workgroup (compile time only)
; SGPRBlocks: 0
; VGPRBlocks: 1
; NumSGPRsForWavesPerEU: 46
; NumVGPRsForWavesPerEU: 15
; Occupancy: 16
; WaveLimiterHint : 1
; COMPUTE_PGM_RSRC2:SCRATCH_EN: 0
; COMPUTE_PGM_RSRC2:USER_SGPR: 6
; COMPUTE_PGM_RSRC2:TRAP_HANDLER: 0
; COMPUTE_PGM_RSRC2:TGID_X_EN: 1
; COMPUTE_PGM_RSRC2:TGID_Y_EN: 0
; COMPUTE_PGM_RSRC2:TGID_Z_EN: 0
; COMPUTE_PGM_RSRC2:TIDIG_COMP_CNT: 0
	.section	.text._ZN9rocsparseL35csrgemm_symbolic_fill_block_per_rowILj1024ELj64ELj4096ELj137ELj64EliEEvT5_PKS1_S3_PKT4_S3_S6_S3_S6_S3_S6_PS1_21rocsparse_index_base_S8_S8_S8_bb,"axG",@progbits,_ZN9rocsparseL35csrgemm_symbolic_fill_block_per_rowILj1024ELj64ELj4096ELj137ELj64EliEEvT5_PKS1_S3_PKT4_S3_S6_S3_S6_S3_S6_PS1_21rocsparse_index_base_S8_S8_S8_bb,comdat
	.globl	_ZN9rocsparseL35csrgemm_symbolic_fill_block_per_rowILj1024ELj64ELj4096ELj137ELj64EliEEvT5_PKS1_S3_PKT4_S3_S6_S3_S6_S3_S6_PS1_21rocsparse_index_base_S8_S8_S8_bb ; -- Begin function _ZN9rocsparseL35csrgemm_symbolic_fill_block_per_rowILj1024ELj64ELj4096ELj137ELj64EliEEvT5_PKS1_S3_PKT4_S3_S6_S3_S6_S3_S6_PS1_21rocsparse_index_base_S8_S8_S8_bb
	.p2align	8
	.type	_ZN9rocsparseL35csrgemm_symbolic_fill_block_per_rowILj1024ELj64ELj4096ELj137ELj64EliEEvT5_PKS1_S3_PKT4_S3_S6_S3_S6_S3_S6_PS1_21rocsparse_index_base_S8_S8_S8_bb,@function
_ZN9rocsparseL35csrgemm_symbolic_fill_block_per_rowILj1024ELj64ELj4096ELj137ELj64EliEEvT5_PKS1_S3_PKT4_S3_S6_S3_S6_S3_S6_PS1_21rocsparse_index_base_S8_S8_S8_bb: ; @_ZN9rocsparseL35csrgemm_symbolic_fill_block_per_rowILj1024ELj64ELj4096ELj137ELj64EliEEvT5_PKS1_S3_PKT4_S3_S6_S3_S6_S3_S6_PS1_21rocsparse_index_base_S8_S8_S8_bb
; %bb.0:
	s_clause 0x3
	s_load_dword s30, s[4:5], 0x0
	s_load_dwordx4 s[24:27], s[4:5], 0x48
	s_load_dwordx8 s[8:15], s[4:5], 0x28
	s_load_dwordx8 s[16:23], s[4:5], 0x8
	v_lshl_add_u32 v7, v0, 2, 0
	v_or_b32_e32 v8, 0xfffffc00, v0
	s_mov_b32 s0, 0
	v_mov_b32_e32 v1, v7
	v_mov_b32_e32 v3, v8
	s_waitcnt lgkmcnt(0)
	v_mov_b32_e32 v2, s30
.LBB37_1:                               ; =>This Inner Loop Header: Depth=1
	v_add_nc_u32_e32 v3, 0x400, v3
	ds_write_b32 v1, v2
	v_add_nc_u32_e32 v1, 0x1000, v1
	v_cmp_lt_u32_e32 vcc_lo, 0xbff, v3
	s_or_b32 s0, vcc_lo, s0
	s_andn2_b32 exec_lo, exec_lo, s0
	s_cbranch_execnz .LBB37_1
; %bb.2:
	s_or_b32 exec_lo, exec_lo, s0
	s_load_dword s2, s[4:5], 0x68
	s_waitcnt lgkmcnt(0)
	s_barrier
	buffer_gl0_inv
	s_load_dword s0, s[16:17], 0x0
	s_mov_b32 s1, 0
	v_lshrrev_b32_e32 v9, 6, v0
	s_bitcmp1_b32 s2, 0
	s_cselect_b32 s3, -1, 0
	s_waitcnt lgkmcnt(0)
	s_add_i32 s0, s0, s6
	s_lshl_b64 s[0:1], s[0:1], 2
	s_add_u32 s0, s18, s0
	s_addc_u32 s1, s19, s1
	s_load_dwordx4 s[16:19], s[4:5], 0x58
	s_load_dword s28, s[0:1], 0x0
	s_and_b32 vcc_lo, exec_lo, s3
	s_cbranch_vccz .LBB37_18
; %bb.3:
	s_waitcnt lgkmcnt(0)
	s_ashr_i32 s29, s28, 31
	s_mov_b32 s3, exec_lo
	s_lshl_b64 s[0:1], s[28:29], 3
	s_add_u32 s0, s20, s0
	s_addc_u32 s1, s21, s1
	s_load_dwordx4 s[4:7], s[0:1], 0x0
	v_sub_co_u32 v1, s0, v9, s16
	v_sub_co_ci_u32_e64 v2, null, 0, 0, s0
	s_waitcnt lgkmcnt(0)
	v_add_co_u32 v1, vcc_lo, s4, v1
	v_add_co_ci_u32_e64 v2, null, s5, v2, vcc_lo
	s_sub_u32 s0, s6, s16
	s_subb_u32 s1, s7, 0
	v_cmpx_gt_i64_e64 s[0:1], v[1:2]
	s_cbranch_execz .LBB37_17
; %bb.4:
	v_and_b32_e32 v3, 63, v0
	s_mov_b32 s5, s17
	v_sub_co_u32 v10, s4, v3, s17
	v_sub_co_ci_u32_e64 v11, null, 0, 0, s4
	s_mov_b32 s4, 0
	s_branch .LBB37_6
.LBB37_5:                               ;   in Loop: Header=BB37_6 Depth=1
	s_or_b32 exec_lo, exec_lo, s6
	v_add_co_u32 v1, vcc_lo, v1, 16
	v_add_co_ci_u32_e64 v2, null, 0, v2, vcc_lo
	v_cmp_le_i64_e32 vcc_lo, s[0:1], v[1:2]
	s_or_b32 s4, vcc_lo, s4
	s_andn2_b32 exec_lo, exec_lo, s4
	s_cbranch_execz .LBB37_17
.LBB37_6:                               ; =>This Loop Header: Depth=1
                                        ;     Child Loop BB37_9 Depth 2
                                        ;       Child Loop BB37_12 Depth 3
	v_lshlrev_b64 v[3:4], 2, v[1:2]
	s_mov_b32 s6, exec_lo
	v_add_co_u32 v3, vcc_lo, s22, v3
	v_add_co_ci_u32_e64 v4, null, s23, v4, vcc_lo
	global_load_dword v3, v[3:4], off
	s_waitcnt vmcnt(0)
	v_subrev_nc_u32_e32 v3, s16, v3
	v_ashrrev_i32_e32 v4, 31, v3
	v_lshlrev_b64 v[3:4], 3, v[3:4]
	v_add_co_u32 v3, vcc_lo, s8, v3
	v_add_co_ci_u32_e64 v4, null, s9, v4, vcc_lo
	global_load_dwordx4 v[12:15], v[3:4], off
	s_waitcnt vmcnt(0)
	v_sub_co_u32 v3, vcc_lo, v14, s5
	v_subrev_co_ci_u32_e64 v4, null, 0, v15, vcc_lo
	v_add_co_u32 v5, vcc_lo, v12, v10
	v_add_co_ci_u32_e64 v6, null, v13, v11, vcc_lo
	v_cmpx_lt_i64_e64 v[5:6], v[3:4]
	s_cbranch_execz .LBB37_5
; %bb.7:                                ;   in Loop: Header=BB37_6 Depth=1
	s_mov_b32 s7, 0
	s_branch .LBB37_9
.LBB37_8:                               ;   in Loop: Header=BB37_9 Depth=2
	s_inst_prefetch 0x2
	s_or_b32 exec_lo, exec_lo, s20
	v_add_co_u32 v5, vcc_lo, v5, 64
	v_add_co_ci_u32_e64 v6, null, 0, v6, vcc_lo
	v_cmp_ge_i64_e32 vcc_lo, v[5:6], v[3:4]
	s_or_b32 s7, vcc_lo, s7
	s_andn2_b32 exec_lo, exec_lo, s7
	s_cbranch_execz .LBB37_5
.LBB37_9:                               ;   Parent Loop BB37_6 Depth=1
                                        ; =>  This Loop Header: Depth=2
                                        ;       Child Loop BB37_12 Depth 3
	v_lshlrev_b64 v[12:13], 2, v[5:6]
	s_mov_b32 s20, 0
                                        ; implicit-def: $sgpr21
	v_add_co_u32 v12, vcc_lo, s10, v12
	v_add_co_ci_u32_e64 v13, null, s11, v13, vcc_lo
	global_load_dword v12, v[12:13], off
	s_waitcnt vmcnt(0)
	v_subrev_nc_u32_e32 v12, s17, v12
	v_mul_lo_u32 v13, 0x89, v12
	v_and_b32_e32 v13, 0xfff, v13
	s_inst_prefetch 0x1
	s_branch .LBB37_12
	.p2align	6
.LBB37_10:                              ;   in Loop: Header=BB37_12 Depth=3
	s_or_b32 exec_lo, exec_lo, s31
	s_andn2_b32 s21, s21, exec_lo
	s_and_b32 s31, s33, exec_lo
	s_or_b32 s21, s21, s31
.LBB37_11:                              ;   in Loop: Header=BB37_12 Depth=3
	s_or_b32 exec_lo, exec_lo, s29
	s_xor_b32 s29, s21, -1
	s_and_b32 s29, exec_lo, s29
	s_or_b32 s20, s29, s20
	s_andn2_b32 exec_lo, exec_lo, s20
	s_cbranch_execz .LBB37_8
.LBB37_12:                              ;   Parent Loop BB37_6 Depth=1
                                        ;     Parent Loop BB37_9 Depth=2
                                        ; =>    This Inner Loop Header: Depth=3
	v_lshl_add_u32 v14, v13, 2, 0
	s_andn2_b32 s21, s21, exec_lo
	s_mov_b32 s29, exec_lo
	ds_read_b32 v15, v14
	s_waitcnt lgkmcnt(0)
	v_cmpx_ne_u32_e64 v15, v12
	s_cbranch_execz .LBB37_11
; %bb.13:                               ;   in Loop: Header=BB37_12 Depth=3
	s_mov_b32 s31, exec_lo
	v_cmpx_ne_u32_e64 s30, v15
	s_xor_b32 s31, exec_lo, s31
; %bb.14:                               ;   in Loop: Header=BB37_12 Depth=3
	v_add_nc_u32_e32 v13, 1, v13
                                        ; implicit-def: $vgpr14
	v_and_b32_e32 v13, 0xfff, v13
; %bb.15:                               ;   in Loop: Header=BB37_12 Depth=3
	s_or_saveexec_b32 s31, s31
	s_mov_b32 s33, -1
	s_xor_b32 exec_lo, exec_lo, s31
	s_cbranch_execz .LBB37_10
; %bb.16:                               ;   in Loop: Header=BB37_12 Depth=3
	v_mov_b32_e32 v15, s30
	ds_cmpst_rtn_b32 v14, v14, v15, v12
	s_waitcnt lgkmcnt(0)
	v_cmp_ne_u32_e32 vcc_lo, s30, v14
	s_orn2_b32 s33, vcc_lo, exec_lo
	s_branch .LBB37_10
.LBB37_17:
	s_or_b32 exec_lo, exec_lo, s3
.LBB37_18:
	s_bfe_u32 s0, s2, 0x10008
	s_cmp_eq_u32 s0, 0
	s_cbranch_scc1 .LBB37_21
; %bb.19:
	s_waitcnt lgkmcnt(0)
	s_ashr_i32 s29, s28, 31
	v_sub_co_u32 v1, s4, v0, s19
	s_lshl_b64 s[0:1], s[28:29], 3
	v_sub_co_ci_u32_e64 v2, null, 0, 0, s4
	s_add_u32 s0, s12, s0
	s_addc_u32 s1, s13, s1
	s_load_dwordx4 s[0:3], s[0:1], 0x0
	s_waitcnt lgkmcnt(0)
	v_add_co_u32 v1, vcc_lo, s0, v1
	v_add_co_ci_u32_e64 v2, null, s1, v2, vcc_lo
	s_sub_u32 s0, s2, s19
	s_subb_u32 s1, s3, 0
	s_mov_b32 s3, 0
	s_mov_b32 s2, exec_lo
	v_cmpx_gt_i64_e64 s[0:1], v[1:2]
	s_cbranch_execnz .LBB37_58
.LBB37_20:
	s_or_b32 exec_lo, exec_lo, s2
.LBB37_21:
	v_mbcnt_lo_u32_b32 v3, -1, 0
	v_mov_b32_e32 v1, 0
	v_lshl_add_u32 v2, v9, 2, 0
	v_cmp_lt_u32_e64 s0, 63, v0
	v_cmp_lt_u32_e64 s1, 0x7f, v0
	v_xor_b32_e32 v3, 31, v3
	v_cmp_lt_u32_e64 s2, 0xbf, v0
	v_cmp_lt_u32_e64 s3, 0xff, v0
	;; [unrolled: 1-line block ×4, first 2 shown]
	v_lshrrev_b32_e64 v3, v3, -1
	v_cmp_lt_u32_e64 s6, 0x1bf, v0
	v_cmp_lt_u32_e64 s7, 0x1ff, v0
	;; [unrolled: 1-line block ×9, first 2 shown]
	v_mov_b32_e32 v4, 0
	s_waitcnt lgkmcnt(0)
	s_mov_b32 s16, 0
	v_cmp_eq_u32_e32 vcc_lo, 0x3ff, v0
	s_barrier
	buffer_gl0_inv
	s_branch .LBB37_23
.LBB37_22:                              ;   in Loop: Header=BB37_23 Depth=1
	s_or_b32 exec_lo, exec_lo, s15
	s_waitcnt lgkmcnt(0)
	s_barrier
	buffer_gl0_inv
	ds_read_b32 v5, v1 offset:16444
	v_add_nc_u32_e32 v8, 0x400, v8
	v_add_nc_u32_e32 v7, 0x1000, v7
	v_cmp_lt_u32_e64 s15, 0xbff, v8
	s_or_b32 s16, s15, s16
	s_waitcnt lgkmcnt(0)
	v_add_nc_u32_e32 v4, v5, v4
	s_andn2_b32 exec_lo, exec_lo, s16
	s_cbranch_execz .LBB37_66
.LBB37_23:                              ; =>This Inner Loop Header: Depth=1
	ds_read_b32 v5, v7
	s_waitcnt lgkmcnt(0)
	s_barrier
	buffer_gl0_inv
	v_cmp_gt_i32_e64 s15, s30, v5
	v_and_b32_e32 v6, s15, v3
	s_bcnt1_i32_b32 s17, s15
	v_mov_b32_e32 v9, s17
	v_bcnt_u32_b32 v6, v6, 0
	ds_write_b32 v2, v9 offset:16384
	s_waitcnt lgkmcnt(0)
	s_barrier
	buffer_gl0_inv
	s_and_saveexec_b32 s17, s0
	s_cbranch_execnz .LBB37_40
; %bb.24:                               ;   in Loop: Header=BB37_23 Depth=1
	s_or_b32 exec_lo, exec_lo, s17
	s_and_saveexec_b32 s17, s1
	s_cbranch_execnz .LBB37_41
.LBB37_25:                              ;   in Loop: Header=BB37_23 Depth=1
	s_or_b32 exec_lo, exec_lo, s17
	s_and_saveexec_b32 s17, s2
	s_cbranch_execnz .LBB37_42
.LBB37_26:                              ;   in Loop: Header=BB37_23 Depth=1
	s_or_b32 exec_lo, exec_lo, s17
	s_and_saveexec_b32 s17, s3
	s_cbranch_execnz .LBB37_43
.LBB37_27:                              ;   in Loop: Header=BB37_23 Depth=1
	s_or_b32 exec_lo, exec_lo, s17
	s_and_saveexec_b32 s17, s4
	s_cbranch_execnz .LBB37_44
.LBB37_28:                              ;   in Loop: Header=BB37_23 Depth=1
	s_or_b32 exec_lo, exec_lo, s17
	s_and_saveexec_b32 s17, s5
	s_cbranch_execnz .LBB37_45
.LBB37_29:                              ;   in Loop: Header=BB37_23 Depth=1
	s_or_b32 exec_lo, exec_lo, s17
	s_and_saveexec_b32 s17, s6
	s_cbranch_execnz .LBB37_46
.LBB37_30:                              ;   in Loop: Header=BB37_23 Depth=1
	s_or_b32 exec_lo, exec_lo, s17
	s_and_saveexec_b32 s17, s7
	s_cbranch_execnz .LBB37_47
.LBB37_31:                              ;   in Loop: Header=BB37_23 Depth=1
	s_or_b32 exec_lo, exec_lo, s17
	s_and_saveexec_b32 s17, s8
	s_cbranch_execnz .LBB37_48
.LBB37_32:                              ;   in Loop: Header=BB37_23 Depth=1
	s_or_b32 exec_lo, exec_lo, s17
	s_and_saveexec_b32 s17, s9
	s_cbranch_execnz .LBB37_49
.LBB37_33:                              ;   in Loop: Header=BB37_23 Depth=1
	s_or_b32 exec_lo, exec_lo, s17
	s_and_saveexec_b32 s17, s10
	s_cbranch_execnz .LBB37_50
.LBB37_34:                              ;   in Loop: Header=BB37_23 Depth=1
	s_or_b32 exec_lo, exec_lo, s17
	s_and_saveexec_b32 s17, s11
	s_cbranch_execnz .LBB37_51
.LBB37_35:                              ;   in Loop: Header=BB37_23 Depth=1
	s_or_b32 exec_lo, exec_lo, s17
	s_and_saveexec_b32 s17, s12
	s_cbranch_execnz .LBB37_52
.LBB37_36:                              ;   in Loop: Header=BB37_23 Depth=1
	s_or_b32 exec_lo, exec_lo, s17
	s_and_saveexec_b32 s17, s13
	s_cbranch_execnz .LBB37_53
.LBB37_37:                              ;   in Loop: Header=BB37_23 Depth=1
	s_or_b32 exec_lo, exec_lo, s17
	s_and_saveexec_b32 s17, s14
	s_cbranch_execnz .LBB37_54
.LBB37_38:                              ;   in Loop: Header=BB37_23 Depth=1
	s_or_b32 exec_lo, exec_lo, s17
	s_and_saveexec_b32 s17, s15
	s_cbranch_execnz .LBB37_55
.LBB37_39:                              ;   in Loop: Header=BB37_23 Depth=1
	s_or_b32 exec_lo, exec_lo, s17
	s_and_saveexec_b32 s15, vcc_lo
	s_cbranch_execz .LBB37_22
	s_branch .LBB37_56
.LBB37_40:                              ;   in Loop: Header=BB37_23 Depth=1
	ds_read_b32 v9, v1 offset:16384
	s_waitcnt lgkmcnt(0)
	v_add_nc_u32_e32 v6, v9, v6
	s_or_b32 exec_lo, exec_lo, s17
	s_and_saveexec_b32 s17, s1
	s_cbranch_execz .LBB37_25
.LBB37_41:                              ;   in Loop: Header=BB37_23 Depth=1
	ds_read_b32 v9, v1 offset:16388
	s_waitcnt lgkmcnt(0)
	v_add_nc_u32_e32 v6, v9, v6
	s_or_b32 exec_lo, exec_lo, s17
	s_and_saveexec_b32 s17, s2
	s_cbranch_execz .LBB37_26
.LBB37_42:                              ;   in Loop: Header=BB37_23 Depth=1
	ds_read_b32 v9, v1 offset:16392
	s_waitcnt lgkmcnt(0)
	v_add_nc_u32_e32 v6, v9, v6
	s_or_b32 exec_lo, exec_lo, s17
	s_and_saveexec_b32 s17, s3
	s_cbranch_execz .LBB37_27
.LBB37_43:                              ;   in Loop: Header=BB37_23 Depth=1
	ds_read_b32 v9, v1 offset:16396
	s_waitcnt lgkmcnt(0)
	v_add_nc_u32_e32 v6, v9, v6
	s_or_b32 exec_lo, exec_lo, s17
	s_and_saveexec_b32 s17, s4
	s_cbranch_execz .LBB37_28
.LBB37_44:                              ;   in Loop: Header=BB37_23 Depth=1
	ds_read_b32 v9, v1 offset:16400
	s_waitcnt lgkmcnt(0)
	v_add_nc_u32_e32 v6, v9, v6
	s_or_b32 exec_lo, exec_lo, s17
	s_and_saveexec_b32 s17, s5
	s_cbranch_execz .LBB37_29
.LBB37_45:                              ;   in Loop: Header=BB37_23 Depth=1
	ds_read_b32 v9, v1 offset:16404
	s_waitcnt lgkmcnt(0)
	v_add_nc_u32_e32 v6, v9, v6
	s_or_b32 exec_lo, exec_lo, s17
	s_and_saveexec_b32 s17, s6
	s_cbranch_execz .LBB37_30
.LBB37_46:                              ;   in Loop: Header=BB37_23 Depth=1
	ds_read_b32 v9, v1 offset:16408
	s_waitcnt lgkmcnt(0)
	v_add_nc_u32_e32 v6, v9, v6
	s_or_b32 exec_lo, exec_lo, s17
	s_and_saveexec_b32 s17, s7
	s_cbranch_execz .LBB37_31
.LBB37_47:                              ;   in Loop: Header=BB37_23 Depth=1
	ds_read_b32 v9, v1 offset:16412
	s_waitcnt lgkmcnt(0)
	v_add_nc_u32_e32 v6, v9, v6
	s_or_b32 exec_lo, exec_lo, s17
	s_and_saveexec_b32 s17, s8
	s_cbranch_execz .LBB37_32
.LBB37_48:                              ;   in Loop: Header=BB37_23 Depth=1
	ds_read_b32 v9, v1 offset:16416
	s_waitcnt lgkmcnt(0)
	v_add_nc_u32_e32 v6, v9, v6
	s_or_b32 exec_lo, exec_lo, s17
	s_and_saveexec_b32 s17, s9
	s_cbranch_execz .LBB37_33
.LBB37_49:                              ;   in Loop: Header=BB37_23 Depth=1
	ds_read_b32 v9, v1 offset:16420
	s_waitcnt lgkmcnt(0)
	v_add_nc_u32_e32 v6, v9, v6
	s_or_b32 exec_lo, exec_lo, s17
	s_and_saveexec_b32 s17, s10
	s_cbranch_execz .LBB37_34
.LBB37_50:                              ;   in Loop: Header=BB37_23 Depth=1
	ds_read_b32 v9, v1 offset:16424
	s_waitcnt lgkmcnt(0)
	v_add_nc_u32_e32 v6, v9, v6
	s_or_b32 exec_lo, exec_lo, s17
	s_and_saveexec_b32 s17, s11
	s_cbranch_execz .LBB37_35
.LBB37_51:                              ;   in Loop: Header=BB37_23 Depth=1
	ds_read_b32 v9, v1 offset:16428
	s_waitcnt lgkmcnt(0)
	v_add_nc_u32_e32 v6, v9, v6
	s_or_b32 exec_lo, exec_lo, s17
	s_and_saveexec_b32 s17, s12
	s_cbranch_execz .LBB37_36
.LBB37_52:                              ;   in Loop: Header=BB37_23 Depth=1
	ds_read_b32 v9, v1 offset:16432
	s_waitcnt lgkmcnt(0)
	v_add_nc_u32_e32 v6, v9, v6
	s_or_b32 exec_lo, exec_lo, s17
	s_and_saveexec_b32 s17, s13
	s_cbranch_execz .LBB37_37
.LBB37_53:                              ;   in Loop: Header=BB37_23 Depth=1
	ds_read_b32 v9, v1 offset:16436
	s_waitcnt lgkmcnt(0)
	v_add_nc_u32_e32 v6, v9, v6
	s_or_b32 exec_lo, exec_lo, s17
	s_and_saveexec_b32 s17, s14
	s_cbranch_execz .LBB37_38
.LBB37_54:                              ;   in Loop: Header=BB37_23 Depth=1
	ds_read_b32 v9, v1 offset:16440
	s_waitcnt lgkmcnt(0)
	v_add_nc_u32_e32 v6, v9, v6
	s_or_b32 exec_lo, exec_lo, s17
	s_and_saveexec_b32 s17, s15
	s_cbranch_execz .LBB37_39
.LBB37_55:                              ;   in Loop: Header=BB37_23 Depth=1
	v_lshlrev_b32_e32 v9, 2, v4
	v_lshlrev_b32_e32 v10, 2, v6
	v_add_nc_u32_e32 v9, 0, v9
	v_add3_u32 v9, v9, v10, -4
	ds_write_b32 v9, v5
	s_or_b32 exec_lo, exec_lo, s17
	s_and_saveexec_b32 s15, vcc_lo
	s_cbranch_execz .LBB37_22
.LBB37_56:                              ;   in Loop: Header=BB37_23 Depth=1
	ds_write_b32 v1, v6 offset:16444
	s_branch .LBB37_22
.LBB37_57:                              ;   in Loop: Header=BB37_58 Depth=1
	s_inst_prefetch 0x2
	s_or_b32 exec_lo, exec_lo, s4
	v_add_co_u32 v1, vcc_lo, 0x400, v1
	v_add_co_ci_u32_e64 v2, null, 0, v2, vcc_lo
	v_cmp_le_i64_e32 vcc_lo, s[0:1], v[1:2]
	s_or_b32 s3, vcc_lo, s3
	s_andn2_b32 exec_lo, exec_lo, s3
	s_cbranch_execz .LBB37_20
.LBB37_58:                              ; =>This Loop Header: Depth=1
                                        ;     Child Loop BB37_61 Depth 2
	v_lshlrev_b64 v[3:4], 2, v[1:2]
	s_mov_b32 s4, 0
                                        ; implicit-def: $sgpr5
	v_add_co_u32 v3, vcc_lo, s14, v3
	v_add_co_ci_u32_e64 v4, null, s15, v4, vcc_lo
	global_load_dword v3, v[3:4], off
	s_waitcnt vmcnt(0)
	v_subrev_nc_u32_e32 v3, s19, v3
	v_mul_lo_u32 v4, 0x89, v3
	v_and_b32_e32 v4, 0xfff, v4
	s_inst_prefetch 0x1
	s_branch .LBB37_61
	.p2align	6
.LBB37_59:                              ;   in Loop: Header=BB37_61 Depth=2
	s_or_b32 exec_lo, exec_lo, s7
	s_andn2_b32 s5, s5, exec_lo
	s_and_b32 s7, s8, exec_lo
	s_or_b32 s5, s5, s7
.LBB37_60:                              ;   in Loop: Header=BB37_61 Depth=2
	s_or_b32 exec_lo, exec_lo, s6
	s_xor_b32 s6, s5, -1
	s_and_b32 s6, exec_lo, s6
	s_or_b32 s4, s6, s4
	s_andn2_b32 exec_lo, exec_lo, s4
	s_cbranch_execz .LBB37_57
.LBB37_61:                              ;   Parent Loop BB37_58 Depth=1
                                        ; =>  This Inner Loop Header: Depth=2
	v_lshl_add_u32 v5, v4, 2, 0
	s_andn2_b32 s5, s5, exec_lo
	s_mov_b32 s6, exec_lo
	ds_read_b32 v6, v5
	s_waitcnt lgkmcnt(0)
	v_cmpx_ne_u32_e64 v6, v3
	s_cbranch_execz .LBB37_60
; %bb.62:                               ;   in Loop: Header=BB37_61 Depth=2
	s_mov_b32 s7, exec_lo
	v_cmpx_ne_u32_e64 s30, v6
	s_xor_b32 s7, exec_lo, s7
; %bb.63:                               ;   in Loop: Header=BB37_61 Depth=2
	v_add_nc_u32_e32 v4, 1, v4
                                        ; implicit-def: $vgpr5
	v_and_b32_e32 v4, 0xfff, v4
; %bb.64:                               ;   in Loop: Header=BB37_61 Depth=2
	s_or_saveexec_b32 s7, s7
	s_mov_b32 s8, -1
	s_xor_b32 exec_lo, exec_lo, s7
	s_cbranch_execz .LBB37_59
; %bb.65:                               ;   in Loop: Header=BB37_61 Depth=2
	v_mov_b32_e32 v6, s30
	ds_cmpst_rtn_b32 v5, v5, v6, v3
	s_waitcnt lgkmcnt(0)
	v_cmp_ne_u32_e32 vcc_lo, s30, v5
	s_orn2_b32 s8, vcc_lo, exec_lo
	s_branch .LBB37_59
.LBB37_66:
	s_or_b32 exec_lo, exec_lo, s16
	s_ashr_i32 s29, s28, 31
	s_mov_b32 s4, exec_lo
	s_lshl_b64 s[0:1], s[28:29], 3
	s_add_u32 s0, s24, s0
	s_addc_u32 s1, s25, s1
	s_load_dwordx4 s[0:3], s[0:1], 0x0
	s_waitcnt lgkmcnt(0)
	s_sub_i32 s3, s2, s0
	v_cmpx_gt_i32_e64 s3, v0
	s_cbranch_execz .LBB37_76
; %bb.67:
	s_sub_u32 s4, s0, s18
	s_subb_u32 s5, s1, 0
	s_sub_i32 s0, s0, s2
	s_and_b32 s1, s3, 7
	s_cmp_lt_u32 s0, -7
	s_mov_b32 s8, 0
	s_cselect_b32 s2, -1, 0
	s_and_b32 s6, s3, -8
	s_cmp_lg_u32 s1, 0
	s_cselect_b32 s7, -1, 0
	s_branch .LBB37_69
.LBB37_68:                              ;   in Loop: Header=BB37_69 Depth=1
	v_lshlrev_b64 v[1:2], 2, v[1:2]
	v_add_nc_u32_e32 v0, 0x400, v0
	s_waitcnt lgkmcnt(0)
	v_add_nc_u32_e32 v3, s18, v3
	v_cmp_le_i32_e32 vcc_lo, s3, v0
	v_add_co_u32 v1, s0, s26, v1
	v_add_co_ci_u32_e64 v2, null, s27, v2, s0
	s_or_b32 s8, vcc_lo, s8
	global_store_dword v[1:2], v3, off
	s_andn2_b32 exec_lo, exec_lo, s8
	s_cbranch_execz .LBB37_76
.LBB37_69:                              ; =>This Loop Header: Depth=1
                                        ;     Child Loop BB37_71 Depth 2
                                        ;     Child Loop BB37_75 Depth 2
	v_lshl_add_u32 v1, v0, 2, 0
	s_andn2_b32 vcc_lo, exec_lo, s2
	s_mov_b32 s0, 0
	ds_read_b32 v3, v1
	v_mov_b32_e32 v1, s4
	v_mov_b32_e32 v2, s5
	s_cbranch_vccnz .LBB37_73
; %bb.70:                               ;   in Loop: Header=BB37_69 Depth=1
	v_mov_b32_e32 v1, s4
	v_mov_b32_e32 v2, s5
	s_mov_b32 s9, 0
	s_mov_b32 s10, 0
.LBB37_71:                              ;   Parent Loop BB37_69 Depth=1
                                        ; =>  This Inner Loop Header: Depth=2
	v_mov_b32_e32 v10, s10
	s_add_i32 s9, s9, 8
	s_add_i32 s10, s10, 32
	s_cmp_eq_u32 s6, s9
	ds_read2_b32 v[4:5], v10 offset1:1
	ds_read2_b32 v[6:7], v10 offset0:2 offset1:3
	ds_read2_b32 v[8:9], v10 offset0:4 offset1:5
	;; [unrolled: 1-line block ×3, first 2 shown]
	s_waitcnt lgkmcnt(3)
	v_cmp_gt_i32_e32 vcc_lo, v3, v4
	v_cndmask_b32_e64 v4, 0, 1, vcc_lo
	v_cmp_gt_i32_e32 vcc_lo, v3, v5
	v_cndmask_b32_e64 v5, 0, 1, vcc_lo
	s_waitcnt lgkmcnt(2)
	v_cmp_gt_i32_e32 vcc_lo, v3, v6
	v_cndmask_b32_e64 v6, 0, 1, vcc_lo
	v_cmp_gt_i32_e32 vcc_lo, v3, v7
	v_cndmask_b32_e64 v7, 0, 1, vcc_lo
	s_waitcnt lgkmcnt(1)
	v_cmp_gt_i32_e32 vcc_lo, v3, v8
	v_cndmask_b32_e64 v8, 0, 1, vcc_lo
	v_add_co_u32 v1, vcc_lo, v1, v4
	v_add_co_ci_u32_e64 v2, null, 0, v2, vcc_lo
	v_cmp_gt_i32_e32 vcc_lo, v3, v9
	v_add_co_u32 v1, s0, v1, v5
	v_add_co_ci_u32_e64 v2, null, 0, v2, s0
	v_cndmask_b32_e64 v4, 0, 1, vcc_lo
	v_add_co_u32 v1, vcc_lo, v1, v6
	v_add_co_ci_u32_e64 v2, null, 0, v2, vcc_lo
	s_waitcnt lgkmcnt(0)
	v_cmp_gt_i32_e32 vcc_lo, v3, v10
	v_add_co_u32 v1, s0, v1, v7
	v_add_co_ci_u32_e64 v2, null, 0, v2, s0
	v_cndmask_b32_e64 v5, 0, 1, vcc_lo
	v_add_co_u32 v1, vcc_lo, v1, v8
	v_add_co_ci_u32_e64 v2, null, 0, v2, vcc_lo
	v_cmp_gt_i32_e32 vcc_lo, v3, v11
	v_add_co_u32 v1, s0, v1, v4
	v_add_co_ci_u32_e64 v2, null, 0, v2, s0
	v_cndmask_b32_e64 v4, 0, 1, vcc_lo
	v_add_co_u32 v1, vcc_lo, v1, v5
	v_add_co_ci_u32_e64 v2, null, 0, v2, vcc_lo
	v_add_co_u32 v1, vcc_lo, v1, v4
	v_add_co_ci_u32_e64 v2, null, 0, v2, vcc_lo
	s_cbranch_scc0 .LBB37_71
; %bb.72:                               ;   in Loop: Header=BB37_69 Depth=1
	s_mov_b32 s0, s6
.LBB37_73:                              ;   in Loop: Header=BB37_69 Depth=1
	s_andn2_b32 vcc_lo, exec_lo, s7
	s_cbranch_vccnz .LBB37_68
; %bb.74:                               ;   in Loop: Header=BB37_69 Depth=1
	s_lshl_b32 s0, s0, 2
	s_mov_b32 s9, s1
	s_add_i32 s0, s0, 0
.LBB37_75:                              ;   Parent Loop BB37_69 Depth=1
                                        ; =>  This Inner Loop Header: Depth=2
	v_mov_b32_e32 v4, s0
	s_add_i32 s9, s9, -1
	s_add_i32 s0, s0, 4
	s_cmp_lg_u32 s9, 0
	ds_read_b32 v4, v4
	s_waitcnt lgkmcnt(0)
	v_cmp_gt_i32_e32 vcc_lo, v3, v4
	v_cndmask_b32_e64 v4, 0, 1, vcc_lo
	v_add_co_u32 v1, vcc_lo, v1, v4
	v_add_co_ci_u32_e64 v2, null, 0, v2, vcc_lo
	s_cbranch_scc1 .LBB37_75
	s_branch .LBB37_68
.LBB37_76:
	s_endpgm
	.section	.rodata,"a",@progbits
	.p2align	6, 0x0
	.amdhsa_kernel _ZN9rocsparseL35csrgemm_symbolic_fill_block_per_rowILj1024ELj64ELj4096ELj137ELj64EliEEvT5_PKS1_S3_PKT4_S3_S6_S3_S6_S3_S6_PS1_21rocsparse_index_base_S8_S8_S8_bb
		.amdhsa_group_segment_fixed_size 0
		.amdhsa_private_segment_fixed_size 0
		.amdhsa_kernarg_size 108
		.amdhsa_user_sgpr_count 6
		.amdhsa_user_sgpr_private_segment_buffer 1
		.amdhsa_user_sgpr_dispatch_ptr 0
		.amdhsa_user_sgpr_queue_ptr 0
		.amdhsa_user_sgpr_kernarg_segment_ptr 1
		.amdhsa_user_sgpr_dispatch_id 0
		.amdhsa_user_sgpr_flat_scratch_init 0
		.amdhsa_user_sgpr_private_segment_size 0
		.amdhsa_wavefront_size32 1
		.amdhsa_uses_dynamic_stack 0
		.amdhsa_system_sgpr_private_segment_wavefront_offset 0
		.amdhsa_system_sgpr_workgroup_id_x 1
		.amdhsa_system_sgpr_workgroup_id_y 0
		.amdhsa_system_sgpr_workgroup_id_z 0
		.amdhsa_system_sgpr_workgroup_info 0
		.amdhsa_system_vgpr_workitem_id 0
		.amdhsa_next_free_vgpr 16
		.amdhsa_next_free_sgpr 34
		.amdhsa_reserve_vcc 1
		.amdhsa_reserve_flat_scratch 0
		.amdhsa_float_round_mode_32 0
		.amdhsa_float_round_mode_16_64 0
		.amdhsa_float_denorm_mode_32 3
		.amdhsa_float_denorm_mode_16_64 3
		.amdhsa_dx10_clamp 1
		.amdhsa_ieee_mode 1
		.amdhsa_fp16_overflow 0
		.amdhsa_workgroup_processor_mode 1
		.amdhsa_memory_ordered 1
		.amdhsa_forward_progress 1
		.amdhsa_shared_vgpr_count 0
		.amdhsa_exception_fp_ieee_invalid_op 0
		.amdhsa_exception_fp_denorm_src 0
		.amdhsa_exception_fp_ieee_div_zero 0
		.amdhsa_exception_fp_ieee_overflow 0
		.amdhsa_exception_fp_ieee_underflow 0
		.amdhsa_exception_fp_ieee_inexact 0
		.amdhsa_exception_int_div_zero 0
	.end_amdhsa_kernel
	.section	.text._ZN9rocsparseL35csrgemm_symbolic_fill_block_per_rowILj1024ELj64ELj4096ELj137ELj64EliEEvT5_PKS1_S3_PKT4_S3_S6_S3_S6_S3_S6_PS1_21rocsparse_index_base_S8_S8_S8_bb,"axG",@progbits,_ZN9rocsparseL35csrgemm_symbolic_fill_block_per_rowILj1024ELj64ELj4096ELj137ELj64EliEEvT5_PKS1_S3_PKT4_S3_S6_S3_S6_S3_S6_PS1_21rocsparse_index_base_S8_S8_S8_bb,comdat
.Lfunc_end37:
	.size	_ZN9rocsparseL35csrgemm_symbolic_fill_block_per_rowILj1024ELj64ELj4096ELj137ELj64EliEEvT5_PKS1_S3_PKT4_S3_S6_S3_S6_S3_S6_PS1_21rocsparse_index_base_S8_S8_S8_bb, .Lfunc_end37-_ZN9rocsparseL35csrgemm_symbolic_fill_block_per_rowILj1024ELj64ELj4096ELj137ELj64EliEEvT5_PKS1_S3_PKT4_S3_S6_S3_S6_S3_S6_PS1_21rocsparse_index_base_S8_S8_S8_bb
                                        ; -- End function
	.set _ZN9rocsparseL35csrgemm_symbolic_fill_block_per_rowILj1024ELj64ELj4096ELj137ELj64EliEEvT5_PKS1_S3_PKT4_S3_S6_S3_S6_S3_S6_PS1_21rocsparse_index_base_S8_S8_S8_bb.num_vgpr, 16
	.set _ZN9rocsparseL35csrgemm_symbolic_fill_block_per_rowILj1024ELj64ELj4096ELj137ELj64EliEEvT5_PKS1_S3_PKT4_S3_S6_S3_S6_S3_S6_PS1_21rocsparse_index_base_S8_S8_S8_bb.num_agpr, 0
	.set _ZN9rocsparseL35csrgemm_symbolic_fill_block_per_rowILj1024ELj64ELj4096ELj137ELj64EliEEvT5_PKS1_S3_PKT4_S3_S6_S3_S6_S3_S6_PS1_21rocsparse_index_base_S8_S8_S8_bb.numbered_sgpr, 34
	.set _ZN9rocsparseL35csrgemm_symbolic_fill_block_per_rowILj1024ELj64ELj4096ELj137ELj64EliEEvT5_PKS1_S3_PKT4_S3_S6_S3_S6_S3_S6_PS1_21rocsparse_index_base_S8_S8_S8_bb.num_named_barrier, 0
	.set _ZN9rocsparseL35csrgemm_symbolic_fill_block_per_rowILj1024ELj64ELj4096ELj137ELj64EliEEvT5_PKS1_S3_PKT4_S3_S6_S3_S6_S3_S6_PS1_21rocsparse_index_base_S8_S8_S8_bb.private_seg_size, 0
	.set _ZN9rocsparseL35csrgemm_symbolic_fill_block_per_rowILj1024ELj64ELj4096ELj137ELj64EliEEvT5_PKS1_S3_PKT4_S3_S6_S3_S6_S3_S6_PS1_21rocsparse_index_base_S8_S8_S8_bb.uses_vcc, 1
	.set _ZN9rocsparseL35csrgemm_symbolic_fill_block_per_rowILj1024ELj64ELj4096ELj137ELj64EliEEvT5_PKS1_S3_PKT4_S3_S6_S3_S6_S3_S6_PS1_21rocsparse_index_base_S8_S8_S8_bb.uses_flat_scratch, 0
	.set _ZN9rocsparseL35csrgemm_symbolic_fill_block_per_rowILj1024ELj64ELj4096ELj137ELj64EliEEvT5_PKS1_S3_PKT4_S3_S6_S3_S6_S3_S6_PS1_21rocsparse_index_base_S8_S8_S8_bb.has_dyn_sized_stack, 0
	.set _ZN9rocsparseL35csrgemm_symbolic_fill_block_per_rowILj1024ELj64ELj4096ELj137ELj64EliEEvT5_PKS1_S3_PKT4_S3_S6_S3_S6_S3_S6_PS1_21rocsparse_index_base_S8_S8_S8_bb.has_recursion, 0
	.set _ZN9rocsparseL35csrgemm_symbolic_fill_block_per_rowILj1024ELj64ELj4096ELj137ELj64EliEEvT5_PKS1_S3_PKT4_S3_S6_S3_S6_S3_S6_PS1_21rocsparse_index_base_S8_S8_S8_bb.has_indirect_call, 0
	.section	.AMDGPU.csdata,"",@progbits
; Kernel info:
; codeLenInByte = 2860
; TotalNumSgprs: 36
; NumVgprs: 16
; ScratchSize: 0
; MemoryBound: 0
; FloatMode: 240
; IeeeMode: 1
; LDSByteSize: 0 bytes/workgroup (compile time only)
; SGPRBlocks: 0
; VGPRBlocks: 1
; NumSGPRsForWavesPerEU: 36
; NumVGPRsForWavesPerEU: 16
; Occupancy: 16
; WaveLimiterHint : 1
; COMPUTE_PGM_RSRC2:SCRATCH_EN: 0
; COMPUTE_PGM_RSRC2:USER_SGPR: 6
; COMPUTE_PGM_RSRC2:TRAP_HANDLER: 0
; COMPUTE_PGM_RSRC2:TGID_X_EN: 1
; COMPUTE_PGM_RSRC2:TGID_Y_EN: 0
; COMPUTE_PGM_RSRC2:TGID_Z_EN: 0
; COMPUTE_PGM_RSRC2:TIDIG_COMP_CNT: 0
	.section	.text._ZN9rocsparseL35csrgemm_symbolic_fill_block_per_rowILj1024ELj64ELj8192ELj137ELj32EliEEvT5_PKS1_S3_PKT4_S3_S6_S3_S6_S3_S6_PS1_21rocsparse_index_base_S8_S8_S8_bb,"axG",@progbits,_ZN9rocsparseL35csrgemm_symbolic_fill_block_per_rowILj1024ELj64ELj8192ELj137ELj32EliEEvT5_PKS1_S3_PKT4_S3_S6_S3_S6_S3_S6_PS1_21rocsparse_index_base_S8_S8_S8_bb,comdat
	.globl	_ZN9rocsparseL35csrgemm_symbolic_fill_block_per_rowILj1024ELj64ELj8192ELj137ELj32EliEEvT5_PKS1_S3_PKT4_S3_S6_S3_S6_S3_S6_PS1_21rocsparse_index_base_S8_S8_S8_bb ; -- Begin function _ZN9rocsparseL35csrgemm_symbolic_fill_block_per_rowILj1024ELj64ELj8192ELj137ELj32EliEEvT5_PKS1_S3_PKT4_S3_S6_S3_S6_S3_S6_PS1_21rocsparse_index_base_S8_S8_S8_bb
	.p2align	8
	.type	_ZN9rocsparseL35csrgemm_symbolic_fill_block_per_rowILj1024ELj64ELj8192ELj137ELj32EliEEvT5_PKS1_S3_PKT4_S3_S6_S3_S6_S3_S6_PS1_21rocsparse_index_base_S8_S8_S8_bb,@function
_ZN9rocsparseL35csrgemm_symbolic_fill_block_per_rowILj1024ELj64ELj8192ELj137ELj32EliEEvT5_PKS1_S3_PKT4_S3_S6_S3_S6_S3_S6_PS1_21rocsparse_index_base_S8_S8_S8_bb: ; @_ZN9rocsparseL35csrgemm_symbolic_fill_block_per_rowILj1024ELj64ELj8192ELj137ELj32EliEEvT5_PKS1_S3_PKT4_S3_S6_S3_S6_S3_S6_PS1_21rocsparse_index_base_S8_S8_S8_bb
; %bb.0:
	s_clause 0x1
	s_load_dword s33, s[4:5], 0x0
	s_load_dwordx4 s[0:3], s[4:5], 0x8
	v_lshl_add_u32 v7, v0, 2, 0
	s_load_dword s10, s[4:5], 0x68
	s_waitcnt lgkmcnt(0)
	v_mov_b32_e32 v1, s33
	v_mov_b32_e32 v2, s33
	;; [unrolled: 1-line block ×8, first 2 shown]
	ds_write2st64_b32 v7, v1, v2 offset1:16
	ds_write2st64_b32 v7, v3, v4 offset0:32 offset1:48
	ds_write2st64_b32 v7, v5, v6 offset0:64 offset1:80
	;; [unrolled: 1-line block ×3, first 2 shown]
	s_waitcnt lgkmcnt(0)
	s_barrier
	buffer_gl0_inv
	s_load_dword s0, s[0:1], 0x0
	s_mov_b32 s1, 0
	s_waitcnt lgkmcnt(0)
	s_add_i32 s0, s0, s6
	s_lshl_b64 s[0:1], s[0:1], 2
	s_add_u32 s0, s2, s0
	s_addc_u32 s1, s3, s1
	s_load_dwordx4 s[36:39], s[4:5], 0x58
	s_load_dword s34, s[0:1], 0x0
	s_bitcmp0_b32 s10, 0
	s_cbranch_scc1 .LBB38_16
; %bb.1:
	s_load_dwordx2 s[0:1], s[4:5], 0x18
	s_waitcnt lgkmcnt(0)
	s_ashr_i32 s35, s34, 31
	v_lshrrev_b32_e32 v1, 6, v0
	s_lshl_b64 s[2:3], s[34:35], 3
	s_mov_b32 s11, exec_lo
	v_sub_co_u32 v1, s6, v1, s36
	v_sub_co_ci_u32_e64 v2, null, 0, 0, s6
	s_add_u32 s0, s0, s2
	s_addc_u32 s1, s1, s3
	s_load_dwordx4 s[0:3], s[0:1], 0x0
	s_waitcnt lgkmcnt(0)
	v_add_co_u32 v1, vcc_lo, s0, v1
	v_add_co_ci_u32_e64 v2, null, s1, v2, vcc_lo
	s_sub_u32 s6, s2, s36
	s_subb_u32 s7, s3, 0
	v_cmpx_gt_i64_e64 s[6:7], v[1:2]
	s_cbranch_execz .LBB38_15
; %bb.2:
	s_clause 0x1
	s_load_dwordx4 s[0:3], s[4:5], 0x20
	s_load_dwordx2 s[8:9], s[4:5], 0x30
	v_and_b32_e32 v3, 63, v0
	s_mov_b32 s13, s37
	v_sub_co_u32 v8, s12, v3, s37
	v_sub_co_ci_u32_e64 v9, null, 0, 0, s12
	s_mov_b32 s12, 0
	s_branch .LBB38_4
.LBB38_3:                               ;   in Loop: Header=BB38_4 Depth=1
	s_or_b32 exec_lo, exec_lo, s14
	v_add_co_u32 v1, vcc_lo, v1, 16
	v_add_co_ci_u32_e64 v2, null, 0, v2, vcc_lo
	v_cmp_le_i64_e32 vcc_lo, s[6:7], v[1:2]
	s_or_b32 s12, vcc_lo, s12
	s_andn2_b32 exec_lo, exec_lo, s12
	s_cbranch_execz .LBB38_15
.LBB38_4:                               ; =>This Loop Header: Depth=1
                                        ;     Child Loop BB38_7 Depth 2
                                        ;       Child Loop BB38_10 Depth 3
	v_lshlrev_b64 v[3:4], 2, v[1:2]
	s_mov_b32 s14, exec_lo
	s_waitcnt lgkmcnt(0)
	v_add_co_u32 v3, vcc_lo, s0, v3
	v_add_co_ci_u32_e64 v4, null, s1, v4, vcc_lo
	global_load_dword v3, v[3:4], off
	s_waitcnt vmcnt(0)
	v_subrev_nc_u32_e32 v3, s36, v3
	v_ashrrev_i32_e32 v4, 31, v3
	v_lshlrev_b64 v[3:4], 3, v[3:4]
	v_add_co_u32 v3, vcc_lo, s2, v3
	v_add_co_ci_u32_e64 v4, null, s3, v4, vcc_lo
	global_load_dwordx4 v[10:13], v[3:4], off
	s_waitcnt vmcnt(0)
	v_sub_co_u32 v3, vcc_lo, v12, s13
	v_subrev_co_ci_u32_e64 v4, null, 0, v13, vcc_lo
	v_add_co_u32 v5, vcc_lo, v10, v8
	v_add_co_ci_u32_e64 v6, null, v11, v9, vcc_lo
	v_cmpx_lt_i64_e64 v[5:6], v[3:4]
	s_cbranch_execz .LBB38_3
; %bb.5:                                ;   in Loop: Header=BB38_4 Depth=1
	s_mov_b32 s15, 0
	s_branch .LBB38_7
.LBB38_6:                               ;   in Loop: Header=BB38_7 Depth=2
	s_inst_prefetch 0x2
	s_or_b32 exec_lo, exec_lo, s16
	v_add_co_u32 v5, vcc_lo, v5, 64
	v_add_co_ci_u32_e64 v6, null, 0, v6, vcc_lo
	v_cmp_ge_i64_e32 vcc_lo, v[5:6], v[3:4]
	s_or_b32 s15, vcc_lo, s15
	s_andn2_b32 exec_lo, exec_lo, s15
	s_cbranch_execz .LBB38_3
.LBB38_7:                               ;   Parent Loop BB38_4 Depth=1
                                        ; =>  This Loop Header: Depth=2
                                        ;       Child Loop BB38_10 Depth 3
	v_lshlrev_b64 v[10:11], 2, v[5:6]
	s_mov_b32 s16, 0
                                        ; implicit-def: $sgpr17
	v_add_co_u32 v10, vcc_lo, s8, v10
	v_add_co_ci_u32_e64 v11, null, s9, v11, vcc_lo
	global_load_dword v10, v[10:11], off
	s_waitcnt vmcnt(0)
	v_subrev_nc_u32_e32 v10, s37, v10
	v_mul_lo_u32 v11, 0x89, v10
	v_and_b32_e32 v11, 0x1fff, v11
	s_inst_prefetch 0x1
	s_branch .LBB38_10
	.p2align	6
.LBB38_8:                               ;   in Loop: Header=BB38_10 Depth=3
	s_or_b32 exec_lo, exec_lo, s19
	s_andn2_b32 s17, s17, exec_lo
	s_and_b32 s19, s20, exec_lo
	s_or_b32 s17, s17, s19
.LBB38_9:                               ;   in Loop: Header=BB38_10 Depth=3
	s_or_b32 exec_lo, exec_lo, s18
	s_xor_b32 s18, s17, -1
	s_and_b32 s18, exec_lo, s18
	s_or_b32 s16, s18, s16
	s_andn2_b32 exec_lo, exec_lo, s16
	s_cbranch_execz .LBB38_6
.LBB38_10:                              ;   Parent Loop BB38_4 Depth=1
                                        ;     Parent Loop BB38_7 Depth=2
                                        ; =>    This Inner Loop Header: Depth=3
	v_lshl_add_u32 v12, v11, 2, 0
	s_andn2_b32 s17, s17, exec_lo
	s_mov_b32 s18, exec_lo
	ds_read_b32 v13, v12
	s_waitcnt lgkmcnt(0)
	v_cmpx_ne_u32_e64 v13, v10
	s_cbranch_execz .LBB38_9
; %bb.11:                               ;   in Loop: Header=BB38_10 Depth=3
	s_mov_b32 s19, exec_lo
	v_cmpx_ne_u32_e64 s33, v13
	s_xor_b32 s19, exec_lo, s19
; %bb.12:                               ;   in Loop: Header=BB38_10 Depth=3
	v_add_nc_u32_e32 v11, 1, v11
                                        ; implicit-def: $vgpr12
	v_and_b32_e32 v11, 0x1fff, v11
; %bb.13:                               ;   in Loop: Header=BB38_10 Depth=3
	s_or_saveexec_b32 s19, s19
	s_mov_b32 s20, -1
	s_xor_b32 exec_lo, exec_lo, s19
	s_cbranch_execz .LBB38_8
; %bb.14:                               ;   in Loop: Header=BB38_10 Depth=3
	v_mov_b32_e32 v13, s33
	ds_cmpst_rtn_b32 v12, v12, v13, v10
	s_waitcnt lgkmcnt(0)
	v_cmp_ne_u32_e32 vcc_lo, s33, v12
	s_orn2_b32 s20, vcc_lo, exec_lo
	s_branch .LBB38_8
.LBB38_15:
	s_or_b32 exec_lo, exec_lo, s11
.LBB38_16:
	s_load_dwordx4 s[40:43], s[4:5], 0x48
	s_bfe_u32 s0, s10, 0x10008
	s_cmp_eq_u32 s0, 0
	s_cbranch_scc1 .LBB38_29
; %bb.17:
	s_load_dwordx2 s[0:1], s[4:5], 0x38
	s_waitcnt lgkmcnt(0)
	s_ashr_i32 s35, s34, 31
	v_sub_co_u32 v1, s6, v0, s39
	s_lshl_b64 s[2:3], s[34:35], 3
	v_sub_co_ci_u32_e64 v2, null, 0, 0, s6
	s_mov_b32 s7, 0
	s_mov_b32 s6, exec_lo
	s_add_u32 s0, s0, s2
	s_addc_u32 s1, s1, s3
	s_load_dwordx4 s[0:3], s[0:1], 0x0
	s_waitcnt lgkmcnt(0)
	v_add_co_u32 v1, vcc_lo, s0, v1
	v_add_co_ci_u32_e64 v2, null, s1, v2, vcc_lo
	s_sub_u32 s0, s2, s39
	s_subb_u32 s1, s3, 0
	v_cmpx_gt_i64_e64 s[0:1], v[1:2]
	s_cbranch_execz .LBB38_28
; %bb.18:
	s_load_dwordx2 s[2:3], s[4:5], 0x40
	s_branch .LBB38_20
.LBB38_19:                              ;   in Loop: Header=BB38_20 Depth=1
	s_inst_prefetch 0x2
	s_or_b32 exec_lo, exec_lo, s4
	v_add_co_u32 v1, vcc_lo, 0x400, v1
	v_add_co_ci_u32_e64 v2, null, 0, v2, vcc_lo
	v_cmp_le_i64_e32 vcc_lo, s[0:1], v[1:2]
	s_or_b32 s7, vcc_lo, s7
	s_andn2_b32 exec_lo, exec_lo, s7
	s_cbranch_execz .LBB38_28
.LBB38_20:                              ; =>This Loop Header: Depth=1
                                        ;     Child Loop BB38_23 Depth 2
	v_lshlrev_b64 v[3:4], 2, v[1:2]
	s_mov_b32 s4, 0
                                        ; implicit-def: $sgpr5
	s_waitcnt lgkmcnt(0)
	v_add_co_u32 v3, vcc_lo, s2, v3
	v_add_co_ci_u32_e64 v4, null, s3, v4, vcc_lo
	global_load_dword v3, v[3:4], off
	s_waitcnt vmcnt(0)
	v_subrev_nc_u32_e32 v3, s39, v3
	v_mul_lo_u32 v4, 0x89, v3
	v_and_b32_e32 v4, 0x1fff, v4
	s_inst_prefetch 0x1
	s_branch .LBB38_23
	.p2align	6
.LBB38_21:                              ;   in Loop: Header=BB38_23 Depth=2
	s_or_b32 exec_lo, exec_lo, s9
	s_andn2_b32 s5, s5, exec_lo
	s_and_b32 s9, s10, exec_lo
	s_or_b32 s5, s5, s9
.LBB38_22:                              ;   in Loop: Header=BB38_23 Depth=2
	s_or_b32 exec_lo, exec_lo, s8
	s_xor_b32 s8, s5, -1
	s_and_b32 s8, exec_lo, s8
	s_or_b32 s4, s8, s4
	s_andn2_b32 exec_lo, exec_lo, s4
	s_cbranch_execz .LBB38_19
.LBB38_23:                              ;   Parent Loop BB38_20 Depth=1
                                        ; =>  This Inner Loop Header: Depth=2
	v_lshl_add_u32 v5, v4, 2, 0
	s_andn2_b32 s5, s5, exec_lo
	s_mov_b32 s8, exec_lo
	ds_read_b32 v6, v5
	s_waitcnt lgkmcnt(0)
	v_cmpx_ne_u32_e64 v6, v3
	s_cbranch_execz .LBB38_22
; %bb.24:                               ;   in Loop: Header=BB38_23 Depth=2
	s_mov_b32 s9, exec_lo
	v_cmpx_ne_u32_e64 s33, v6
	s_xor_b32 s9, exec_lo, s9
; %bb.25:                               ;   in Loop: Header=BB38_23 Depth=2
	v_add_nc_u32_e32 v4, 1, v4
                                        ; implicit-def: $vgpr5
	v_and_b32_e32 v4, 0x1fff, v4
; %bb.26:                               ;   in Loop: Header=BB38_23 Depth=2
	s_or_saveexec_b32 s9, s9
	s_mov_b32 s10, -1
	s_xor_b32 exec_lo, exec_lo, s9
	s_cbranch_execz .LBB38_21
; %bb.27:                               ;   in Loop: Header=BB38_23 Depth=2
	v_mov_b32_e32 v6, s33
	ds_cmpst_rtn_b32 v5, v5, v6, v3
	s_waitcnt lgkmcnt(0)
	v_cmp_ne_u32_e32 vcc_lo, s33, v5
	s_orn2_b32 s10, vcc_lo, exec_lo
	s_branch .LBB38_21
.LBB38_28:
	s_or_b32 exec_lo, exec_lo, s6
.LBB38_29:
	v_mbcnt_lo_u32_b32 v2, -1, 0
	v_lshrrev_b32_e32 v3, 3, v0
	v_mov_b32_e32 v1, 0
	v_cmp_lt_u32_e64 s0, 31, v0
	v_cmp_lt_u32_e64 s1, 63, v0
	v_xor_b32_e32 v2, 31, v2
	v_and_b32_e32 v3, 0x7c, v3
	v_cmp_lt_u32_e64 s2, 0x5f, v0
	v_cmp_lt_u32_e64 s3, 0x7f, v0
	;; [unrolled: 1-line block ×3, first 2 shown]
	v_lshrrev_b32_e64 v2, v2, -1
	v_add_nc_u32_e32 v3, 0, v3
	v_cmp_lt_u32_e64 s5, 0xbf, v0
	v_cmp_lt_u32_e64 s6, 0xdf, v0
	;; [unrolled: 1-line block ×26, first 2 shown]
	v_or_b32_e32 v4, 0xfffffc00, v0
	v_mov_b32_e32 v5, 0
	s_mov_b32 s35, 0
	v_cmp_eq_u32_e32 vcc_lo, 0x3ff, v0
	s_waitcnt lgkmcnt(0)
	s_barrier
	buffer_gl0_inv
	s_branch .LBB38_31
.LBB38_30:                              ;   in Loop: Header=BB38_31 Depth=1
	s_or_b32 exec_lo, exec_lo, s31
	s_waitcnt lgkmcnt(0)
	s_barrier
	buffer_gl0_inv
	ds_read_b32 v6, v1 offset:32892
	v_add_nc_u32_e32 v4, 0x400, v4
	v_add_nc_u32_e32 v7, 0x1000, v7
	v_cmp_lt_u32_e64 s31, 0x1bff, v4
	s_or_b32 s35, s31, s35
	s_waitcnt lgkmcnt(0)
	v_add_nc_u32_e32 v5, v6, v5
	s_andn2_b32 exec_lo, exec_lo, s35
	s_cbranch_execz .LBB38_97
.LBB38_31:                              ; =>This Inner Loop Header: Depth=1
	ds_read_b32 v6, v7
	s_waitcnt lgkmcnt(0)
	s_barrier
	buffer_gl0_inv
	v_cmp_gt_i32_e64 s31, s33, v6
	v_and_b32_e32 v8, s31, v2
	s_bcnt1_i32_b32 s36, s31
	v_mov_b32_e32 v9, s36
	v_bcnt_u32_b32 v8, v8, 0
	ds_write_b32 v3, v9 offset:32768
	s_waitcnt lgkmcnt(0)
	s_barrier
	buffer_gl0_inv
	s_and_saveexec_b32 s36, s0
	s_cbranch_execnz .LBB38_64
; %bb.32:                               ;   in Loop: Header=BB38_31 Depth=1
	s_or_b32 exec_lo, exec_lo, s36
	s_and_saveexec_b32 s36, s1
	s_cbranch_execnz .LBB38_65
.LBB38_33:                              ;   in Loop: Header=BB38_31 Depth=1
	s_or_b32 exec_lo, exec_lo, s36
	s_and_saveexec_b32 s36, s2
	s_cbranch_execnz .LBB38_66
.LBB38_34:                              ;   in Loop: Header=BB38_31 Depth=1
	s_or_b32 exec_lo, exec_lo, s36
	s_and_saveexec_b32 s36, s3
	s_cbranch_execnz .LBB38_67
.LBB38_35:                              ;   in Loop: Header=BB38_31 Depth=1
	s_or_b32 exec_lo, exec_lo, s36
	s_and_saveexec_b32 s36, s4
	s_cbranch_execnz .LBB38_68
.LBB38_36:                              ;   in Loop: Header=BB38_31 Depth=1
	s_or_b32 exec_lo, exec_lo, s36
	s_and_saveexec_b32 s36, s5
	s_cbranch_execnz .LBB38_69
.LBB38_37:                              ;   in Loop: Header=BB38_31 Depth=1
	s_or_b32 exec_lo, exec_lo, s36
	s_and_saveexec_b32 s36, s6
	s_cbranch_execnz .LBB38_70
.LBB38_38:                              ;   in Loop: Header=BB38_31 Depth=1
	s_or_b32 exec_lo, exec_lo, s36
	s_and_saveexec_b32 s36, s7
	s_cbranch_execnz .LBB38_71
.LBB38_39:                              ;   in Loop: Header=BB38_31 Depth=1
	s_or_b32 exec_lo, exec_lo, s36
	s_and_saveexec_b32 s36, s8
	s_cbranch_execnz .LBB38_72
.LBB38_40:                              ;   in Loop: Header=BB38_31 Depth=1
	s_or_b32 exec_lo, exec_lo, s36
	s_and_saveexec_b32 s36, s9
	s_cbranch_execnz .LBB38_73
.LBB38_41:                              ;   in Loop: Header=BB38_31 Depth=1
	s_or_b32 exec_lo, exec_lo, s36
	s_and_saveexec_b32 s36, s10
	s_cbranch_execnz .LBB38_74
.LBB38_42:                              ;   in Loop: Header=BB38_31 Depth=1
	s_or_b32 exec_lo, exec_lo, s36
	s_and_saveexec_b32 s36, s11
	s_cbranch_execnz .LBB38_75
.LBB38_43:                              ;   in Loop: Header=BB38_31 Depth=1
	s_or_b32 exec_lo, exec_lo, s36
	s_and_saveexec_b32 s36, s12
	s_cbranch_execnz .LBB38_76
.LBB38_44:                              ;   in Loop: Header=BB38_31 Depth=1
	s_or_b32 exec_lo, exec_lo, s36
	s_and_saveexec_b32 s36, s13
	s_cbranch_execnz .LBB38_77
.LBB38_45:                              ;   in Loop: Header=BB38_31 Depth=1
	s_or_b32 exec_lo, exec_lo, s36
	s_and_saveexec_b32 s36, s14
	s_cbranch_execnz .LBB38_78
.LBB38_46:                              ;   in Loop: Header=BB38_31 Depth=1
	s_or_b32 exec_lo, exec_lo, s36
	s_and_saveexec_b32 s36, s15
	s_cbranch_execnz .LBB38_79
.LBB38_47:                              ;   in Loop: Header=BB38_31 Depth=1
	s_or_b32 exec_lo, exec_lo, s36
	s_and_saveexec_b32 s36, s16
	s_cbranch_execnz .LBB38_80
.LBB38_48:                              ;   in Loop: Header=BB38_31 Depth=1
	s_or_b32 exec_lo, exec_lo, s36
	s_and_saveexec_b32 s36, s17
	s_cbranch_execnz .LBB38_81
.LBB38_49:                              ;   in Loop: Header=BB38_31 Depth=1
	s_or_b32 exec_lo, exec_lo, s36
	s_and_saveexec_b32 s36, s18
	s_cbranch_execnz .LBB38_82
.LBB38_50:                              ;   in Loop: Header=BB38_31 Depth=1
	s_or_b32 exec_lo, exec_lo, s36
	s_and_saveexec_b32 s36, s19
	s_cbranch_execnz .LBB38_83
.LBB38_51:                              ;   in Loop: Header=BB38_31 Depth=1
	s_or_b32 exec_lo, exec_lo, s36
	s_and_saveexec_b32 s36, s20
	s_cbranch_execnz .LBB38_84
.LBB38_52:                              ;   in Loop: Header=BB38_31 Depth=1
	s_or_b32 exec_lo, exec_lo, s36
	s_and_saveexec_b32 s36, s21
	s_cbranch_execnz .LBB38_85
.LBB38_53:                              ;   in Loop: Header=BB38_31 Depth=1
	s_or_b32 exec_lo, exec_lo, s36
	s_and_saveexec_b32 s36, s22
	s_cbranch_execnz .LBB38_86
.LBB38_54:                              ;   in Loop: Header=BB38_31 Depth=1
	s_or_b32 exec_lo, exec_lo, s36
	s_and_saveexec_b32 s36, s23
	s_cbranch_execnz .LBB38_87
.LBB38_55:                              ;   in Loop: Header=BB38_31 Depth=1
	s_or_b32 exec_lo, exec_lo, s36
	s_and_saveexec_b32 s36, s24
	s_cbranch_execnz .LBB38_88
.LBB38_56:                              ;   in Loop: Header=BB38_31 Depth=1
	s_or_b32 exec_lo, exec_lo, s36
	s_and_saveexec_b32 s36, s25
	s_cbranch_execnz .LBB38_89
.LBB38_57:                              ;   in Loop: Header=BB38_31 Depth=1
	s_or_b32 exec_lo, exec_lo, s36
	s_and_saveexec_b32 s36, s26
	s_cbranch_execnz .LBB38_90
.LBB38_58:                              ;   in Loop: Header=BB38_31 Depth=1
	s_or_b32 exec_lo, exec_lo, s36
	s_and_saveexec_b32 s36, s27
	s_cbranch_execnz .LBB38_91
.LBB38_59:                              ;   in Loop: Header=BB38_31 Depth=1
	s_or_b32 exec_lo, exec_lo, s36
	s_and_saveexec_b32 s36, s28
	s_cbranch_execnz .LBB38_92
.LBB38_60:                              ;   in Loop: Header=BB38_31 Depth=1
	s_or_b32 exec_lo, exec_lo, s36
	s_and_saveexec_b32 s36, s29
	s_cbranch_execnz .LBB38_93
.LBB38_61:                              ;   in Loop: Header=BB38_31 Depth=1
	s_or_b32 exec_lo, exec_lo, s36
	s_and_saveexec_b32 s36, s30
	s_cbranch_execnz .LBB38_94
.LBB38_62:                              ;   in Loop: Header=BB38_31 Depth=1
	s_or_b32 exec_lo, exec_lo, s36
	s_and_saveexec_b32 s36, s31
	s_cbranch_execnz .LBB38_95
.LBB38_63:                              ;   in Loop: Header=BB38_31 Depth=1
	s_or_b32 exec_lo, exec_lo, s36
	s_and_saveexec_b32 s31, vcc_lo
	s_cbranch_execz .LBB38_30
	s_branch .LBB38_96
.LBB38_64:                              ;   in Loop: Header=BB38_31 Depth=1
	ds_read_b32 v9, v1 offset:32768
	s_waitcnt lgkmcnt(0)
	v_add_nc_u32_e32 v8, v9, v8
	s_or_b32 exec_lo, exec_lo, s36
	s_and_saveexec_b32 s36, s1
	s_cbranch_execz .LBB38_33
.LBB38_65:                              ;   in Loop: Header=BB38_31 Depth=1
	ds_read_b32 v9, v1 offset:32772
	s_waitcnt lgkmcnt(0)
	v_add_nc_u32_e32 v8, v9, v8
	s_or_b32 exec_lo, exec_lo, s36
	s_and_saveexec_b32 s36, s2
	s_cbranch_execz .LBB38_34
.LBB38_66:                              ;   in Loop: Header=BB38_31 Depth=1
	ds_read_b32 v9, v1 offset:32776
	s_waitcnt lgkmcnt(0)
	v_add_nc_u32_e32 v8, v9, v8
	s_or_b32 exec_lo, exec_lo, s36
	s_and_saveexec_b32 s36, s3
	s_cbranch_execz .LBB38_35
.LBB38_67:                              ;   in Loop: Header=BB38_31 Depth=1
	ds_read_b32 v9, v1 offset:32780
	s_waitcnt lgkmcnt(0)
	v_add_nc_u32_e32 v8, v9, v8
	s_or_b32 exec_lo, exec_lo, s36
	s_and_saveexec_b32 s36, s4
	s_cbranch_execz .LBB38_36
.LBB38_68:                              ;   in Loop: Header=BB38_31 Depth=1
	ds_read_b32 v9, v1 offset:32784
	s_waitcnt lgkmcnt(0)
	v_add_nc_u32_e32 v8, v9, v8
	s_or_b32 exec_lo, exec_lo, s36
	s_and_saveexec_b32 s36, s5
	s_cbranch_execz .LBB38_37
.LBB38_69:                              ;   in Loop: Header=BB38_31 Depth=1
	ds_read_b32 v9, v1 offset:32788
	s_waitcnt lgkmcnt(0)
	v_add_nc_u32_e32 v8, v9, v8
	s_or_b32 exec_lo, exec_lo, s36
	s_and_saveexec_b32 s36, s6
	s_cbranch_execz .LBB38_38
.LBB38_70:                              ;   in Loop: Header=BB38_31 Depth=1
	ds_read_b32 v9, v1 offset:32792
	s_waitcnt lgkmcnt(0)
	v_add_nc_u32_e32 v8, v9, v8
	s_or_b32 exec_lo, exec_lo, s36
	s_and_saveexec_b32 s36, s7
	s_cbranch_execz .LBB38_39
.LBB38_71:                              ;   in Loop: Header=BB38_31 Depth=1
	ds_read_b32 v9, v1 offset:32796
	s_waitcnt lgkmcnt(0)
	v_add_nc_u32_e32 v8, v9, v8
	s_or_b32 exec_lo, exec_lo, s36
	s_and_saveexec_b32 s36, s8
	s_cbranch_execz .LBB38_40
.LBB38_72:                              ;   in Loop: Header=BB38_31 Depth=1
	ds_read_b32 v9, v1 offset:32800
	s_waitcnt lgkmcnt(0)
	v_add_nc_u32_e32 v8, v9, v8
	s_or_b32 exec_lo, exec_lo, s36
	s_and_saveexec_b32 s36, s9
	s_cbranch_execz .LBB38_41
.LBB38_73:                              ;   in Loop: Header=BB38_31 Depth=1
	ds_read_b32 v9, v1 offset:32804
	s_waitcnt lgkmcnt(0)
	v_add_nc_u32_e32 v8, v9, v8
	s_or_b32 exec_lo, exec_lo, s36
	s_and_saveexec_b32 s36, s10
	s_cbranch_execz .LBB38_42
.LBB38_74:                              ;   in Loop: Header=BB38_31 Depth=1
	ds_read_b32 v9, v1 offset:32808
	s_waitcnt lgkmcnt(0)
	v_add_nc_u32_e32 v8, v9, v8
	s_or_b32 exec_lo, exec_lo, s36
	s_and_saveexec_b32 s36, s11
	s_cbranch_execz .LBB38_43
.LBB38_75:                              ;   in Loop: Header=BB38_31 Depth=1
	ds_read_b32 v9, v1 offset:32812
	s_waitcnt lgkmcnt(0)
	v_add_nc_u32_e32 v8, v9, v8
	s_or_b32 exec_lo, exec_lo, s36
	s_and_saveexec_b32 s36, s12
	s_cbranch_execz .LBB38_44
.LBB38_76:                              ;   in Loop: Header=BB38_31 Depth=1
	ds_read_b32 v9, v1 offset:32816
	s_waitcnt lgkmcnt(0)
	v_add_nc_u32_e32 v8, v9, v8
	s_or_b32 exec_lo, exec_lo, s36
	s_and_saveexec_b32 s36, s13
	s_cbranch_execz .LBB38_45
.LBB38_77:                              ;   in Loop: Header=BB38_31 Depth=1
	ds_read_b32 v9, v1 offset:32820
	s_waitcnt lgkmcnt(0)
	v_add_nc_u32_e32 v8, v9, v8
	s_or_b32 exec_lo, exec_lo, s36
	s_and_saveexec_b32 s36, s14
	s_cbranch_execz .LBB38_46
.LBB38_78:                              ;   in Loop: Header=BB38_31 Depth=1
	ds_read_b32 v9, v1 offset:32824
	s_waitcnt lgkmcnt(0)
	v_add_nc_u32_e32 v8, v9, v8
	s_or_b32 exec_lo, exec_lo, s36
	s_and_saveexec_b32 s36, s15
	s_cbranch_execz .LBB38_47
.LBB38_79:                              ;   in Loop: Header=BB38_31 Depth=1
	ds_read_b32 v9, v1 offset:32828
	s_waitcnt lgkmcnt(0)
	v_add_nc_u32_e32 v8, v9, v8
	s_or_b32 exec_lo, exec_lo, s36
	s_and_saveexec_b32 s36, s16
	s_cbranch_execz .LBB38_48
.LBB38_80:                              ;   in Loop: Header=BB38_31 Depth=1
	ds_read_b32 v9, v1 offset:32832
	s_waitcnt lgkmcnt(0)
	v_add_nc_u32_e32 v8, v9, v8
	s_or_b32 exec_lo, exec_lo, s36
	s_and_saveexec_b32 s36, s17
	s_cbranch_execz .LBB38_49
.LBB38_81:                              ;   in Loop: Header=BB38_31 Depth=1
	ds_read_b32 v9, v1 offset:32836
	s_waitcnt lgkmcnt(0)
	v_add_nc_u32_e32 v8, v9, v8
	s_or_b32 exec_lo, exec_lo, s36
	s_and_saveexec_b32 s36, s18
	s_cbranch_execz .LBB38_50
.LBB38_82:                              ;   in Loop: Header=BB38_31 Depth=1
	ds_read_b32 v9, v1 offset:32840
	s_waitcnt lgkmcnt(0)
	v_add_nc_u32_e32 v8, v9, v8
	s_or_b32 exec_lo, exec_lo, s36
	s_and_saveexec_b32 s36, s19
	s_cbranch_execz .LBB38_51
.LBB38_83:                              ;   in Loop: Header=BB38_31 Depth=1
	ds_read_b32 v9, v1 offset:32844
	s_waitcnt lgkmcnt(0)
	v_add_nc_u32_e32 v8, v9, v8
	s_or_b32 exec_lo, exec_lo, s36
	s_and_saveexec_b32 s36, s20
	s_cbranch_execz .LBB38_52
.LBB38_84:                              ;   in Loop: Header=BB38_31 Depth=1
	ds_read_b32 v9, v1 offset:32848
	s_waitcnt lgkmcnt(0)
	v_add_nc_u32_e32 v8, v9, v8
	s_or_b32 exec_lo, exec_lo, s36
	s_and_saveexec_b32 s36, s21
	s_cbranch_execz .LBB38_53
.LBB38_85:                              ;   in Loop: Header=BB38_31 Depth=1
	ds_read_b32 v9, v1 offset:32852
	s_waitcnt lgkmcnt(0)
	v_add_nc_u32_e32 v8, v9, v8
	s_or_b32 exec_lo, exec_lo, s36
	s_and_saveexec_b32 s36, s22
	s_cbranch_execz .LBB38_54
.LBB38_86:                              ;   in Loop: Header=BB38_31 Depth=1
	ds_read_b32 v9, v1 offset:32856
	s_waitcnt lgkmcnt(0)
	v_add_nc_u32_e32 v8, v9, v8
	s_or_b32 exec_lo, exec_lo, s36
	s_and_saveexec_b32 s36, s23
	s_cbranch_execz .LBB38_55
.LBB38_87:                              ;   in Loop: Header=BB38_31 Depth=1
	ds_read_b32 v9, v1 offset:32860
	s_waitcnt lgkmcnt(0)
	v_add_nc_u32_e32 v8, v9, v8
	s_or_b32 exec_lo, exec_lo, s36
	s_and_saveexec_b32 s36, s24
	s_cbranch_execz .LBB38_56
.LBB38_88:                              ;   in Loop: Header=BB38_31 Depth=1
	ds_read_b32 v9, v1 offset:32864
	s_waitcnt lgkmcnt(0)
	v_add_nc_u32_e32 v8, v9, v8
	s_or_b32 exec_lo, exec_lo, s36
	s_and_saveexec_b32 s36, s25
	s_cbranch_execz .LBB38_57
.LBB38_89:                              ;   in Loop: Header=BB38_31 Depth=1
	ds_read_b32 v9, v1 offset:32868
	s_waitcnt lgkmcnt(0)
	v_add_nc_u32_e32 v8, v9, v8
	s_or_b32 exec_lo, exec_lo, s36
	s_and_saveexec_b32 s36, s26
	s_cbranch_execz .LBB38_58
.LBB38_90:                              ;   in Loop: Header=BB38_31 Depth=1
	ds_read_b32 v9, v1 offset:32872
	s_waitcnt lgkmcnt(0)
	v_add_nc_u32_e32 v8, v9, v8
	s_or_b32 exec_lo, exec_lo, s36
	s_and_saveexec_b32 s36, s27
	s_cbranch_execz .LBB38_59
.LBB38_91:                              ;   in Loop: Header=BB38_31 Depth=1
	ds_read_b32 v9, v1 offset:32876
	s_waitcnt lgkmcnt(0)
	v_add_nc_u32_e32 v8, v9, v8
	s_or_b32 exec_lo, exec_lo, s36
	s_and_saveexec_b32 s36, s28
	s_cbranch_execz .LBB38_60
.LBB38_92:                              ;   in Loop: Header=BB38_31 Depth=1
	ds_read_b32 v9, v1 offset:32880
	s_waitcnt lgkmcnt(0)
	v_add_nc_u32_e32 v8, v9, v8
	s_or_b32 exec_lo, exec_lo, s36
	s_and_saveexec_b32 s36, s29
	s_cbranch_execz .LBB38_61
.LBB38_93:                              ;   in Loop: Header=BB38_31 Depth=1
	ds_read_b32 v9, v1 offset:32884
	s_waitcnt lgkmcnt(0)
	v_add_nc_u32_e32 v8, v9, v8
	s_or_b32 exec_lo, exec_lo, s36
	s_and_saveexec_b32 s36, s30
	s_cbranch_execz .LBB38_62
.LBB38_94:                              ;   in Loop: Header=BB38_31 Depth=1
	ds_read_b32 v9, v1 offset:32888
	s_waitcnt lgkmcnt(0)
	v_add_nc_u32_e32 v8, v9, v8
	s_or_b32 exec_lo, exec_lo, s36
	s_and_saveexec_b32 s36, s31
	s_cbranch_execz .LBB38_63
.LBB38_95:                              ;   in Loop: Header=BB38_31 Depth=1
	v_lshlrev_b32_e32 v9, 2, v5
	v_lshlrev_b32_e32 v10, 2, v8
	v_add_nc_u32_e32 v9, 0, v9
	v_add3_u32 v9, v9, v10, -4
	ds_write_b32 v9, v6
	s_or_b32 exec_lo, exec_lo, s36
	s_and_saveexec_b32 s31, vcc_lo
	s_cbranch_execz .LBB38_30
.LBB38_96:                              ;   in Loop: Header=BB38_31 Depth=1
	ds_write_b32 v1, v8 offset:32892
	s_branch .LBB38_30
.LBB38_97:
	s_or_b32 exec_lo, exec_lo, s35
	s_ashr_i32 s35, s34, 31
	s_mov_b32 s4, exec_lo
	s_lshl_b64 s[0:1], s[34:35], 3
	s_add_u32 s0, s40, s0
	s_addc_u32 s1, s41, s1
	s_load_dwordx4 s[0:3], s[0:1], 0x0
	s_waitcnt lgkmcnt(0)
	s_sub_i32 s3, s2, s0
	v_cmpx_gt_i32_e64 s3, v0
	s_cbranch_execz .LBB38_107
; %bb.98:
	s_sub_u32 s4, s0, s38
	s_subb_u32 s5, s1, 0
	s_sub_i32 s0, s0, s2
	s_and_b32 s1, s3, 7
	s_cmp_lt_u32 s0, -7
	s_mov_b32 s8, 0
	s_cselect_b32 s2, -1, 0
	s_and_b32 s6, s3, -8
	s_cmp_lg_u32 s1, 0
	s_cselect_b32 s7, -1, 0
	s_branch .LBB38_100
.LBB38_99:                              ;   in Loop: Header=BB38_100 Depth=1
	v_lshlrev_b64 v[1:2], 2, v[1:2]
	v_add_nc_u32_e32 v0, 0x400, v0
	s_waitcnt lgkmcnt(0)
	v_add_nc_u32_e32 v3, s38, v3
	v_cmp_le_i32_e32 vcc_lo, s3, v0
	v_add_co_u32 v1, s0, s42, v1
	v_add_co_ci_u32_e64 v2, null, s43, v2, s0
	s_or_b32 s8, vcc_lo, s8
	global_store_dword v[1:2], v3, off
	s_andn2_b32 exec_lo, exec_lo, s8
	s_cbranch_execz .LBB38_107
.LBB38_100:                             ; =>This Loop Header: Depth=1
                                        ;     Child Loop BB38_102 Depth 2
                                        ;     Child Loop BB38_106 Depth 2
	v_lshl_add_u32 v1, v0, 2, 0
	s_andn2_b32 vcc_lo, exec_lo, s2
	s_mov_b32 s0, 0
	ds_read_b32 v3, v1
	v_mov_b32_e32 v1, s4
	v_mov_b32_e32 v2, s5
	s_cbranch_vccnz .LBB38_104
; %bb.101:                              ;   in Loop: Header=BB38_100 Depth=1
	v_mov_b32_e32 v1, s4
	v_mov_b32_e32 v2, s5
	s_mov_b32 s9, 0
	s_mov_b32 s10, 0
.LBB38_102:                             ;   Parent Loop BB38_100 Depth=1
                                        ; =>  This Inner Loop Header: Depth=2
	v_mov_b32_e32 v10, s10
	s_add_i32 s9, s9, 8
	s_add_i32 s10, s10, 32
	s_cmp_eq_u32 s6, s9
	ds_read2_b32 v[4:5], v10 offset1:1
	ds_read2_b32 v[6:7], v10 offset0:2 offset1:3
	ds_read2_b32 v[8:9], v10 offset0:4 offset1:5
	;; [unrolled: 1-line block ×3, first 2 shown]
	s_waitcnt lgkmcnt(3)
	v_cmp_gt_i32_e32 vcc_lo, v3, v4
	v_cndmask_b32_e64 v4, 0, 1, vcc_lo
	v_cmp_gt_i32_e32 vcc_lo, v3, v5
	v_cndmask_b32_e64 v5, 0, 1, vcc_lo
	s_waitcnt lgkmcnt(2)
	v_cmp_gt_i32_e32 vcc_lo, v3, v6
	v_cndmask_b32_e64 v6, 0, 1, vcc_lo
	v_cmp_gt_i32_e32 vcc_lo, v3, v7
	v_cndmask_b32_e64 v7, 0, 1, vcc_lo
	s_waitcnt lgkmcnt(1)
	v_cmp_gt_i32_e32 vcc_lo, v3, v8
	v_cndmask_b32_e64 v8, 0, 1, vcc_lo
	v_add_co_u32 v1, vcc_lo, v1, v4
	v_add_co_ci_u32_e64 v2, null, 0, v2, vcc_lo
	v_cmp_gt_i32_e32 vcc_lo, v3, v9
	v_add_co_u32 v1, s0, v1, v5
	v_add_co_ci_u32_e64 v2, null, 0, v2, s0
	v_cndmask_b32_e64 v4, 0, 1, vcc_lo
	v_add_co_u32 v1, vcc_lo, v1, v6
	v_add_co_ci_u32_e64 v2, null, 0, v2, vcc_lo
	s_waitcnt lgkmcnt(0)
	v_cmp_gt_i32_e32 vcc_lo, v3, v10
	v_add_co_u32 v1, s0, v1, v7
	v_add_co_ci_u32_e64 v2, null, 0, v2, s0
	v_cndmask_b32_e64 v5, 0, 1, vcc_lo
	v_add_co_u32 v1, vcc_lo, v1, v8
	v_add_co_ci_u32_e64 v2, null, 0, v2, vcc_lo
	v_cmp_gt_i32_e32 vcc_lo, v3, v11
	v_add_co_u32 v1, s0, v1, v4
	v_add_co_ci_u32_e64 v2, null, 0, v2, s0
	v_cndmask_b32_e64 v4, 0, 1, vcc_lo
	v_add_co_u32 v1, vcc_lo, v1, v5
	v_add_co_ci_u32_e64 v2, null, 0, v2, vcc_lo
	v_add_co_u32 v1, vcc_lo, v1, v4
	v_add_co_ci_u32_e64 v2, null, 0, v2, vcc_lo
	s_cbranch_scc0 .LBB38_102
; %bb.103:                              ;   in Loop: Header=BB38_100 Depth=1
	s_mov_b32 s0, s6
.LBB38_104:                             ;   in Loop: Header=BB38_100 Depth=1
	s_andn2_b32 vcc_lo, exec_lo, s7
	s_cbranch_vccnz .LBB38_99
; %bb.105:                              ;   in Loop: Header=BB38_100 Depth=1
	s_lshl_b32 s0, s0, 2
	s_mov_b32 s9, s1
	s_add_i32 s0, s0, 0
.LBB38_106:                             ;   Parent Loop BB38_100 Depth=1
                                        ; =>  This Inner Loop Header: Depth=2
	v_mov_b32_e32 v4, s0
	s_add_i32 s9, s9, -1
	s_add_i32 s0, s0, 4
	s_cmp_lg_u32 s9, 0
	ds_read_b32 v4, v4
	s_waitcnt lgkmcnt(0)
	v_cmp_gt_i32_e32 vcc_lo, v3, v4
	v_cndmask_b32_e64 v4, 0, 1, vcc_lo
	v_add_co_u32 v1, vcc_lo, v1, v4
	v_add_co_ci_u32_e64 v2, null, 0, v2, vcc_lo
	s_cbranch_scc1 .LBB38_106
	s_branch .LBB38_99
.LBB38_107:
	s_endpgm
	.section	.rodata,"a",@progbits
	.p2align	6, 0x0
	.amdhsa_kernel _ZN9rocsparseL35csrgemm_symbolic_fill_block_per_rowILj1024ELj64ELj8192ELj137ELj32EliEEvT5_PKS1_S3_PKT4_S3_S6_S3_S6_S3_S6_PS1_21rocsparse_index_base_S8_S8_S8_bb
		.amdhsa_group_segment_fixed_size 0
		.amdhsa_private_segment_fixed_size 0
		.amdhsa_kernarg_size 108
		.amdhsa_user_sgpr_count 6
		.amdhsa_user_sgpr_private_segment_buffer 1
		.amdhsa_user_sgpr_dispatch_ptr 0
		.amdhsa_user_sgpr_queue_ptr 0
		.amdhsa_user_sgpr_kernarg_segment_ptr 1
		.amdhsa_user_sgpr_dispatch_id 0
		.amdhsa_user_sgpr_flat_scratch_init 0
		.amdhsa_user_sgpr_private_segment_size 0
		.amdhsa_wavefront_size32 1
		.amdhsa_uses_dynamic_stack 0
		.amdhsa_system_sgpr_private_segment_wavefront_offset 0
		.amdhsa_system_sgpr_workgroup_id_x 1
		.amdhsa_system_sgpr_workgroup_id_y 0
		.amdhsa_system_sgpr_workgroup_id_z 0
		.amdhsa_system_sgpr_workgroup_info 0
		.amdhsa_system_vgpr_workitem_id 0
		.amdhsa_next_free_vgpr 14
		.amdhsa_next_free_sgpr 44
		.amdhsa_reserve_vcc 1
		.amdhsa_reserve_flat_scratch 0
		.amdhsa_float_round_mode_32 0
		.amdhsa_float_round_mode_16_64 0
		.amdhsa_float_denorm_mode_32 3
		.amdhsa_float_denorm_mode_16_64 3
		.amdhsa_dx10_clamp 1
		.amdhsa_ieee_mode 1
		.amdhsa_fp16_overflow 0
		.amdhsa_workgroup_processor_mode 1
		.amdhsa_memory_ordered 1
		.amdhsa_forward_progress 1
		.amdhsa_shared_vgpr_count 0
		.amdhsa_exception_fp_ieee_invalid_op 0
		.amdhsa_exception_fp_denorm_src 0
		.amdhsa_exception_fp_ieee_div_zero 0
		.amdhsa_exception_fp_ieee_overflow 0
		.amdhsa_exception_fp_ieee_underflow 0
		.amdhsa_exception_fp_ieee_inexact 0
		.amdhsa_exception_int_div_zero 0
	.end_amdhsa_kernel
	.section	.text._ZN9rocsparseL35csrgemm_symbolic_fill_block_per_rowILj1024ELj64ELj8192ELj137ELj32EliEEvT5_PKS1_S3_PKT4_S3_S6_S3_S6_S3_S6_PS1_21rocsparse_index_base_S8_S8_S8_bb,"axG",@progbits,_ZN9rocsparseL35csrgemm_symbolic_fill_block_per_rowILj1024ELj64ELj8192ELj137ELj32EliEEvT5_PKS1_S3_PKT4_S3_S6_S3_S6_S3_S6_PS1_21rocsparse_index_base_S8_S8_S8_bb,comdat
.Lfunc_end38:
	.size	_ZN9rocsparseL35csrgemm_symbolic_fill_block_per_rowILj1024ELj64ELj8192ELj137ELj32EliEEvT5_PKS1_S3_PKT4_S3_S6_S3_S6_S3_S6_PS1_21rocsparse_index_base_S8_S8_S8_bb, .Lfunc_end38-_ZN9rocsparseL35csrgemm_symbolic_fill_block_per_rowILj1024ELj64ELj8192ELj137ELj32EliEEvT5_PKS1_S3_PKT4_S3_S6_S3_S6_S3_S6_PS1_21rocsparse_index_base_S8_S8_S8_bb
                                        ; -- End function
	.set _ZN9rocsparseL35csrgemm_symbolic_fill_block_per_rowILj1024ELj64ELj8192ELj137ELj32EliEEvT5_PKS1_S3_PKT4_S3_S6_S3_S6_S3_S6_PS1_21rocsparse_index_base_S8_S8_S8_bb.num_vgpr, 14
	.set _ZN9rocsparseL35csrgemm_symbolic_fill_block_per_rowILj1024ELj64ELj8192ELj137ELj32EliEEvT5_PKS1_S3_PKT4_S3_S6_S3_S6_S3_S6_PS1_21rocsparse_index_base_S8_S8_S8_bb.num_agpr, 0
	.set _ZN9rocsparseL35csrgemm_symbolic_fill_block_per_rowILj1024ELj64ELj8192ELj137ELj32EliEEvT5_PKS1_S3_PKT4_S3_S6_S3_S6_S3_S6_PS1_21rocsparse_index_base_S8_S8_S8_bb.numbered_sgpr, 44
	.set _ZN9rocsparseL35csrgemm_symbolic_fill_block_per_rowILj1024ELj64ELj8192ELj137ELj32EliEEvT5_PKS1_S3_PKT4_S3_S6_S3_S6_S3_S6_PS1_21rocsparse_index_base_S8_S8_S8_bb.num_named_barrier, 0
	.set _ZN9rocsparseL35csrgemm_symbolic_fill_block_per_rowILj1024ELj64ELj8192ELj137ELj32EliEEvT5_PKS1_S3_PKT4_S3_S6_S3_S6_S3_S6_PS1_21rocsparse_index_base_S8_S8_S8_bb.private_seg_size, 0
	.set _ZN9rocsparseL35csrgemm_symbolic_fill_block_per_rowILj1024ELj64ELj8192ELj137ELj32EliEEvT5_PKS1_S3_PKT4_S3_S6_S3_S6_S3_S6_PS1_21rocsparse_index_base_S8_S8_S8_bb.uses_vcc, 1
	.set _ZN9rocsparseL35csrgemm_symbolic_fill_block_per_rowILj1024ELj64ELj8192ELj137ELj32EliEEvT5_PKS1_S3_PKT4_S3_S6_S3_S6_S3_S6_PS1_21rocsparse_index_base_S8_S8_S8_bb.uses_flat_scratch, 0
	.set _ZN9rocsparseL35csrgemm_symbolic_fill_block_per_rowILj1024ELj64ELj8192ELj137ELj32EliEEvT5_PKS1_S3_PKT4_S3_S6_S3_S6_S3_S6_PS1_21rocsparse_index_base_S8_S8_S8_bb.has_dyn_sized_stack, 0
	.set _ZN9rocsparseL35csrgemm_symbolic_fill_block_per_rowILj1024ELj64ELj8192ELj137ELj32EliEEvT5_PKS1_S3_PKT4_S3_S6_S3_S6_S3_S6_PS1_21rocsparse_index_base_S8_S8_S8_bb.has_recursion, 0
	.set _ZN9rocsparseL35csrgemm_symbolic_fill_block_per_rowILj1024ELj64ELj8192ELj137ELj32EliEEvT5_PKS1_S3_PKT4_S3_S6_S3_S6_S3_S6_PS1_21rocsparse_index_base_S8_S8_S8_bb.has_indirect_call, 0
	.section	.AMDGPU.csdata,"",@progbits
; Kernel info:
; codeLenInByte = 3756
; TotalNumSgprs: 46
; NumVgprs: 14
; ScratchSize: 0
; MemoryBound: 0
; FloatMode: 240
; IeeeMode: 1
; LDSByteSize: 0 bytes/workgroup (compile time only)
; SGPRBlocks: 0
; VGPRBlocks: 1
; NumSGPRsForWavesPerEU: 46
; NumVGPRsForWavesPerEU: 14
; Occupancy: 16
; WaveLimiterHint : 1
; COMPUTE_PGM_RSRC2:SCRATCH_EN: 0
; COMPUTE_PGM_RSRC2:USER_SGPR: 6
; COMPUTE_PGM_RSRC2:TRAP_HANDLER: 0
; COMPUTE_PGM_RSRC2:TGID_X_EN: 1
; COMPUTE_PGM_RSRC2:TGID_Y_EN: 0
; COMPUTE_PGM_RSRC2:TGID_Z_EN: 0
; COMPUTE_PGM_RSRC2:TIDIG_COMP_CNT: 0
	.section	.text._ZN9rocsparseL35csrgemm_symbolic_fill_block_per_rowILj1024ELj64ELj8192ELj137ELj64EliEEvT5_PKS1_S3_PKT4_S3_S6_S3_S6_S3_S6_PS1_21rocsparse_index_base_S8_S8_S8_bb,"axG",@progbits,_ZN9rocsparseL35csrgemm_symbolic_fill_block_per_rowILj1024ELj64ELj8192ELj137ELj64EliEEvT5_PKS1_S3_PKT4_S3_S6_S3_S6_S3_S6_PS1_21rocsparse_index_base_S8_S8_S8_bb,comdat
	.globl	_ZN9rocsparseL35csrgemm_symbolic_fill_block_per_rowILj1024ELj64ELj8192ELj137ELj64EliEEvT5_PKS1_S3_PKT4_S3_S6_S3_S6_S3_S6_PS1_21rocsparse_index_base_S8_S8_S8_bb ; -- Begin function _ZN9rocsparseL35csrgemm_symbolic_fill_block_per_rowILj1024ELj64ELj8192ELj137ELj64EliEEvT5_PKS1_S3_PKT4_S3_S6_S3_S6_S3_S6_PS1_21rocsparse_index_base_S8_S8_S8_bb
	.p2align	8
	.type	_ZN9rocsparseL35csrgemm_symbolic_fill_block_per_rowILj1024ELj64ELj8192ELj137ELj64EliEEvT5_PKS1_S3_PKT4_S3_S6_S3_S6_S3_S6_PS1_21rocsparse_index_base_S8_S8_S8_bb,@function
_ZN9rocsparseL35csrgemm_symbolic_fill_block_per_rowILj1024ELj64ELj8192ELj137ELj64EliEEvT5_PKS1_S3_PKT4_S3_S6_S3_S6_S3_S6_PS1_21rocsparse_index_base_S8_S8_S8_bb: ; @_ZN9rocsparseL35csrgemm_symbolic_fill_block_per_rowILj1024ELj64ELj8192ELj137ELj64EliEEvT5_PKS1_S3_PKT4_S3_S6_S3_S6_S3_S6_PS1_21rocsparse_index_base_S8_S8_S8_bb
; %bb.0:
	s_clause 0x1
	s_load_dword s26, s[4:5], 0x0
	s_load_dwordx4 s[0:3], s[4:5], 0x8
	v_lshl_add_u32 v7, v0, 2, 0
	s_load_dword s10, s[4:5], 0x68
	s_waitcnt lgkmcnt(0)
	v_mov_b32_e32 v1, s26
	v_mov_b32_e32 v2, s26
	;; [unrolled: 1-line block ×8, first 2 shown]
	ds_write2st64_b32 v7, v1, v2 offset1:16
	ds_write2st64_b32 v7, v3, v4 offset0:32 offset1:48
	ds_write2st64_b32 v7, v5, v6 offset0:64 offset1:80
	;; [unrolled: 1-line block ×3, first 2 shown]
	s_waitcnt lgkmcnt(0)
	s_barrier
	buffer_gl0_inv
	s_load_dword s0, s[0:1], 0x0
	s_mov_b32 s1, 0
	v_lshrrev_b32_e32 v8, 6, v0
	s_waitcnt lgkmcnt(0)
	s_add_i32 s0, s0, s6
	s_lshl_b64 s[0:1], s[0:1], 2
	s_add_u32 s0, s2, s0
	s_addc_u32 s1, s3, s1
	s_load_dwordx4 s[16:19], s[4:5], 0x58
	s_load_dword s24, s[0:1], 0x0
	s_bitcmp0_b32 s10, 0
	s_cbranch_scc1 .LBB39_16
; %bb.1:
	s_load_dwordx2 s[0:1], s[4:5], 0x18
	s_waitcnt lgkmcnt(0)
	s_ashr_i32 s25, s24, 31
	v_sub_co_u32 v1, s6, v8, s16
	s_lshl_b64 s[2:3], s[24:25], 3
	v_sub_co_ci_u32_e64 v2, null, 0, 0, s6
	s_mov_b32 s11, exec_lo
	s_add_u32 s0, s0, s2
	s_addc_u32 s1, s1, s3
	s_load_dwordx4 s[0:3], s[0:1], 0x0
	s_waitcnt lgkmcnt(0)
	v_add_co_u32 v1, vcc_lo, s0, v1
	v_add_co_ci_u32_e64 v2, null, s1, v2, vcc_lo
	s_sub_u32 s6, s2, s16
	s_subb_u32 s7, s3, 0
	v_cmpx_gt_i64_e64 s[6:7], v[1:2]
	s_cbranch_execz .LBB39_15
; %bb.2:
	s_clause 0x1
	s_load_dwordx4 s[0:3], s[4:5], 0x20
	s_load_dwordx2 s[8:9], s[4:5], 0x30
	v_and_b32_e32 v3, 63, v0
	s_mov_b32 s13, s17
	v_sub_co_u32 v9, s12, v3, s17
	v_sub_co_ci_u32_e64 v10, null, 0, 0, s12
	s_mov_b32 s12, 0
	s_branch .LBB39_4
.LBB39_3:                               ;   in Loop: Header=BB39_4 Depth=1
	s_or_b32 exec_lo, exec_lo, s14
	v_add_co_u32 v1, vcc_lo, v1, 16
	v_add_co_ci_u32_e64 v2, null, 0, v2, vcc_lo
	v_cmp_le_i64_e32 vcc_lo, s[6:7], v[1:2]
	s_or_b32 s12, vcc_lo, s12
	s_andn2_b32 exec_lo, exec_lo, s12
	s_cbranch_execz .LBB39_15
.LBB39_4:                               ; =>This Loop Header: Depth=1
                                        ;     Child Loop BB39_7 Depth 2
                                        ;       Child Loop BB39_10 Depth 3
	v_lshlrev_b64 v[3:4], 2, v[1:2]
	s_mov_b32 s14, exec_lo
	s_waitcnt lgkmcnt(0)
	v_add_co_u32 v3, vcc_lo, s0, v3
	v_add_co_ci_u32_e64 v4, null, s1, v4, vcc_lo
	global_load_dword v3, v[3:4], off
	s_waitcnt vmcnt(0)
	v_subrev_nc_u32_e32 v3, s16, v3
	v_ashrrev_i32_e32 v4, 31, v3
	v_lshlrev_b64 v[3:4], 3, v[3:4]
	v_add_co_u32 v3, vcc_lo, s2, v3
	v_add_co_ci_u32_e64 v4, null, s3, v4, vcc_lo
	global_load_dwordx4 v[11:14], v[3:4], off
	s_waitcnt vmcnt(0)
	v_sub_co_u32 v3, vcc_lo, v13, s13
	v_subrev_co_ci_u32_e64 v4, null, 0, v14, vcc_lo
	v_add_co_u32 v5, vcc_lo, v11, v9
	v_add_co_ci_u32_e64 v6, null, v12, v10, vcc_lo
	v_cmpx_lt_i64_e64 v[5:6], v[3:4]
	s_cbranch_execz .LBB39_3
; %bb.5:                                ;   in Loop: Header=BB39_4 Depth=1
	s_mov_b32 s15, 0
	s_branch .LBB39_7
.LBB39_6:                               ;   in Loop: Header=BB39_7 Depth=2
	s_inst_prefetch 0x2
	s_or_b32 exec_lo, exec_lo, s20
	v_add_co_u32 v5, vcc_lo, v5, 64
	v_add_co_ci_u32_e64 v6, null, 0, v6, vcc_lo
	v_cmp_ge_i64_e32 vcc_lo, v[5:6], v[3:4]
	s_or_b32 s15, vcc_lo, s15
	s_andn2_b32 exec_lo, exec_lo, s15
	s_cbranch_execz .LBB39_3
.LBB39_7:                               ;   Parent Loop BB39_4 Depth=1
                                        ; =>  This Loop Header: Depth=2
                                        ;       Child Loop BB39_10 Depth 3
	v_lshlrev_b64 v[11:12], 2, v[5:6]
	s_mov_b32 s20, 0
                                        ; implicit-def: $sgpr21
	v_add_co_u32 v11, vcc_lo, s8, v11
	v_add_co_ci_u32_e64 v12, null, s9, v12, vcc_lo
	global_load_dword v11, v[11:12], off
	s_waitcnt vmcnt(0)
	v_subrev_nc_u32_e32 v11, s17, v11
	v_mul_lo_u32 v12, 0x89, v11
	v_and_b32_e32 v12, 0x1fff, v12
	s_inst_prefetch 0x1
	s_branch .LBB39_10
	.p2align	6
.LBB39_8:                               ;   in Loop: Header=BB39_10 Depth=3
	s_or_b32 exec_lo, exec_lo, s23
	s_andn2_b32 s21, s21, exec_lo
	s_and_b32 s23, s25, exec_lo
	s_or_b32 s21, s21, s23
.LBB39_9:                               ;   in Loop: Header=BB39_10 Depth=3
	s_or_b32 exec_lo, exec_lo, s22
	s_xor_b32 s22, s21, -1
	s_and_b32 s22, exec_lo, s22
	s_or_b32 s20, s22, s20
	s_andn2_b32 exec_lo, exec_lo, s20
	s_cbranch_execz .LBB39_6
.LBB39_10:                              ;   Parent Loop BB39_4 Depth=1
                                        ;     Parent Loop BB39_7 Depth=2
                                        ; =>    This Inner Loop Header: Depth=3
	v_lshl_add_u32 v13, v12, 2, 0
	s_andn2_b32 s21, s21, exec_lo
	s_mov_b32 s22, exec_lo
	ds_read_b32 v14, v13
	s_waitcnt lgkmcnt(0)
	v_cmpx_ne_u32_e64 v14, v11
	s_cbranch_execz .LBB39_9
; %bb.11:                               ;   in Loop: Header=BB39_10 Depth=3
	s_mov_b32 s23, exec_lo
	v_cmpx_ne_u32_e64 s26, v14
	s_xor_b32 s23, exec_lo, s23
; %bb.12:                               ;   in Loop: Header=BB39_10 Depth=3
	v_add_nc_u32_e32 v12, 1, v12
                                        ; implicit-def: $vgpr13
	v_and_b32_e32 v12, 0x1fff, v12
; %bb.13:                               ;   in Loop: Header=BB39_10 Depth=3
	s_or_saveexec_b32 s23, s23
	s_mov_b32 s25, -1
	s_xor_b32 exec_lo, exec_lo, s23
	s_cbranch_execz .LBB39_8
; %bb.14:                               ;   in Loop: Header=BB39_10 Depth=3
	v_mov_b32_e32 v14, s26
	ds_cmpst_rtn_b32 v13, v13, v14, v11
	s_waitcnt lgkmcnt(0)
	v_cmp_ne_u32_e32 vcc_lo, s26, v13
	s_orn2_b32 s25, vcc_lo, exec_lo
	s_branch .LBB39_8
.LBB39_15:
	s_or_b32 exec_lo, exec_lo, s11
.LBB39_16:
	s_load_dwordx4 s[20:23], s[4:5], 0x48
	s_bfe_u32 s0, s10, 0x10008
	s_cmp_eq_u32 s0, 0
	s_cbranch_scc1 .LBB39_29
; %bb.17:
	s_load_dwordx2 s[0:1], s[4:5], 0x38
	s_waitcnt lgkmcnt(0)
	s_ashr_i32 s25, s24, 31
	v_sub_co_u32 v1, s6, v0, s19
	s_lshl_b64 s[2:3], s[24:25], 3
	v_sub_co_ci_u32_e64 v2, null, 0, 0, s6
	s_mov_b32 s7, 0
	s_mov_b32 s6, exec_lo
	s_add_u32 s0, s0, s2
	s_addc_u32 s1, s1, s3
	s_load_dwordx4 s[0:3], s[0:1], 0x0
	s_waitcnt lgkmcnt(0)
	v_add_co_u32 v1, vcc_lo, s0, v1
	v_add_co_ci_u32_e64 v2, null, s1, v2, vcc_lo
	s_sub_u32 s0, s2, s19
	s_subb_u32 s1, s3, 0
	v_cmpx_gt_i64_e64 s[0:1], v[1:2]
	s_cbranch_execz .LBB39_28
; %bb.18:
	s_load_dwordx2 s[2:3], s[4:5], 0x40
	s_branch .LBB39_20
.LBB39_19:                              ;   in Loop: Header=BB39_20 Depth=1
	s_inst_prefetch 0x2
	s_or_b32 exec_lo, exec_lo, s4
	v_add_co_u32 v1, vcc_lo, 0x400, v1
	v_add_co_ci_u32_e64 v2, null, 0, v2, vcc_lo
	v_cmp_le_i64_e32 vcc_lo, s[0:1], v[1:2]
	s_or_b32 s7, vcc_lo, s7
	s_andn2_b32 exec_lo, exec_lo, s7
	s_cbranch_execz .LBB39_28
.LBB39_20:                              ; =>This Loop Header: Depth=1
                                        ;     Child Loop BB39_23 Depth 2
	v_lshlrev_b64 v[3:4], 2, v[1:2]
	s_mov_b32 s4, 0
                                        ; implicit-def: $sgpr5
	s_waitcnt lgkmcnt(0)
	v_add_co_u32 v3, vcc_lo, s2, v3
	v_add_co_ci_u32_e64 v4, null, s3, v4, vcc_lo
	global_load_dword v3, v[3:4], off
	s_waitcnt vmcnt(0)
	v_subrev_nc_u32_e32 v3, s19, v3
	v_mul_lo_u32 v4, 0x89, v3
	v_and_b32_e32 v4, 0x1fff, v4
	s_inst_prefetch 0x1
	s_branch .LBB39_23
	.p2align	6
.LBB39_21:                              ;   in Loop: Header=BB39_23 Depth=2
	s_or_b32 exec_lo, exec_lo, s9
	s_andn2_b32 s5, s5, exec_lo
	s_and_b32 s9, s10, exec_lo
	s_or_b32 s5, s5, s9
.LBB39_22:                              ;   in Loop: Header=BB39_23 Depth=2
	s_or_b32 exec_lo, exec_lo, s8
	s_xor_b32 s8, s5, -1
	s_and_b32 s8, exec_lo, s8
	s_or_b32 s4, s8, s4
	s_andn2_b32 exec_lo, exec_lo, s4
	s_cbranch_execz .LBB39_19
.LBB39_23:                              ;   Parent Loop BB39_20 Depth=1
                                        ; =>  This Inner Loop Header: Depth=2
	v_lshl_add_u32 v5, v4, 2, 0
	s_andn2_b32 s5, s5, exec_lo
	s_mov_b32 s8, exec_lo
	ds_read_b32 v6, v5
	s_waitcnt lgkmcnt(0)
	v_cmpx_ne_u32_e64 v6, v3
	s_cbranch_execz .LBB39_22
; %bb.24:                               ;   in Loop: Header=BB39_23 Depth=2
	s_mov_b32 s9, exec_lo
	v_cmpx_ne_u32_e64 s26, v6
	s_xor_b32 s9, exec_lo, s9
; %bb.25:                               ;   in Loop: Header=BB39_23 Depth=2
	v_add_nc_u32_e32 v4, 1, v4
                                        ; implicit-def: $vgpr5
	v_and_b32_e32 v4, 0x1fff, v4
; %bb.26:                               ;   in Loop: Header=BB39_23 Depth=2
	s_or_saveexec_b32 s9, s9
	s_mov_b32 s10, -1
	s_xor_b32 exec_lo, exec_lo, s9
	s_cbranch_execz .LBB39_21
; %bb.27:                               ;   in Loop: Header=BB39_23 Depth=2
	v_mov_b32_e32 v6, s26
	ds_cmpst_rtn_b32 v5, v5, v6, v3
	s_waitcnt lgkmcnt(0)
	v_cmp_ne_u32_e32 vcc_lo, s26, v5
	s_orn2_b32 s10, vcc_lo, exec_lo
	s_branch .LBB39_21
.LBB39_28:
	s_or_b32 exec_lo, exec_lo, s6
.LBB39_29:
	v_mbcnt_lo_u32_b32 v3, -1, 0
	v_mov_b32_e32 v1, 0
	v_lshl_add_u32 v2, v8, 2, 0
	v_cmp_lt_u32_e64 s0, 63, v0
	v_cmp_lt_u32_e64 s1, 0x7f, v0
	v_xor_b32_e32 v3, 31, v3
	v_cmp_lt_u32_e64 s2, 0xbf, v0
	v_cmp_lt_u32_e64 s3, 0xff, v0
	;; [unrolled: 1-line block ×4, first 2 shown]
	v_lshrrev_b32_e64 v3, v3, -1
	v_cmp_lt_u32_e64 s6, 0x1bf, v0
	v_cmp_lt_u32_e64 s7, 0x1ff, v0
	;; [unrolled: 1-line block ×9, first 2 shown]
	v_or_b32_e32 v4, 0xfffffc00, v0
	v_mov_b32_e32 v5, 0
	s_waitcnt lgkmcnt(0)
	s_mov_b32 s16, 0
	v_cmp_eq_u32_e32 vcc_lo, 0x3ff, v0
	s_barrier
	buffer_gl0_inv
	s_branch .LBB39_31
.LBB39_30:                              ;   in Loop: Header=BB39_31 Depth=1
	s_or_b32 exec_lo, exec_lo, s15
	s_waitcnt lgkmcnt(0)
	s_barrier
	buffer_gl0_inv
	ds_read_b32 v6, v1 offset:32828
	v_add_nc_u32_e32 v4, 0x400, v4
	v_add_nc_u32_e32 v7, 0x1000, v7
	v_cmp_lt_u32_e64 s15, 0x1bff, v4
	s_or_b32 s16, s15, s16
	s_waitcnt lgkmcnt(0)
	v_add_nc_u32_e32 v5, v6, v5
	s_andn2_b32 exec_lo, exec_lo, s16
	s_cbranch_execz .LBB39_65
.LBB39_31:                              ; =>This Inner Loop Header: Depth=1
	ds_read_b32 v6, v7
	s_waitcnt lgkmcnt(0)
	s_barrier
	buffer_gl0_inv
	v_cmp_gt_i32_e64 s15, s26, v6
	v_and_b32_e32 v8, s15, v3
	s_bcnt1_i32_b32 s17, s15
	v_mov_b32_e32 v9, s17
	v_bcnt_u32_b32 v8, v8, 0
	ds_write_b32 v2, v9 offset:32768
	s_waitcnt lgkmcnt(0)
	s_barrier
	buffer_gl0_inv
	s_and_saveexec_b32 s17, s0
	s_cbranch_execnz .LBB39_48
; %bb.32:                               ;   in Loop: Header=BB39_31 Depth=1
	s_or_b32 exec_lo, exec_lo, s17
	s_and_saveexec_b32 s17, s1
	s_cbranch_execnz .LBB39_49
.LBB39_33:                              ;   in Loop: Header=BB39_31 Depth=1
	s_or_b32 exec_lo, exec_lo, s17
	s_and_saveexec_b32 s17, s2
	s_cbranch_execnz .LBB39_50
.LBB39_34:                              ;   in Loop: Header=BB39_31 Depth=1
	s_or_b32 exec_lo, exec_lo, s17
	s_and_saveexec_b32 s17, s3
	s_cbranch_execnz .LBB39_51
.LBB39_35:                              ;   in Loop: Header=BB39_31 Depth=1
	s_or_b32 exec_lo, exec_lo, s17
	s_and_saveexec_b32 s17, s4
	s_cbranch_execnz .LBB39_52
.LBB39_36:                              ;   in Loop: Header=BB39_31 Depth=1
	s_or_b32 exec_lo, exec_lo, s17
	s_and_saveexec_b32 s17, s5
	s_cbranch_execnz .LBB39_53
.LBB39_37:                              ;   in Loop: Header=BB39_31 Depth=1
	s_or_b32 exec_lo, exec_lo, s17
	s_and_saveexec_b32 s17, s6
	s_cbranch_execnz .LBB39_54
.LBB39_38:                              ;   in Loop: Header=BB39_31 Depth=1
	s_or_b32 exec_lo, exec_lo, s17
	s_and_saveexec_b32 s17, s7
	s_cbranch_execnz .LBB39_55
.LBB39_39:                              ;   in Loop: Header=BB39_31 Depth=1
	s_or_b32 exec_lo, exec_lo, s17
	s_and_saveexec_b32 s17, s8
	s_cbranch_execnz .LBB39_56
.LBB39_40:                              ;   in Loop: Header=BB39_31 Depth=1
	s_or_b32 exec_lo, exec_lo, s17
	s_and_saveexec_b32 s17, s9
	s_cbranch_execnz .LBB39_57
.LBB39_41:                              ;   in Loop: Header=BB39_31 Depth=1
	s_or_b32 exec_lo, exec_lo, s17
	s_and_saveexec_b32 s17, s10
	s_cbranch_execnz .LBB39_58
.LBB39_42:                              ;   in Loop: Header=BB39_31 Depth=1
	s_or_b32 exec_lo, exec_lo, s17
	s_and_saveexec_b32 s17, s11
	s_cbranch_execnz .LBB39_59
.LBB39_43:                              ;   in Loop: Header=BB39_31 Depth=1
	s_or_b32 exec_lo, exec_lo, s17
	s_and_saveexec_b32 s17, s12
	s_cbranch_execnz .LBB39_60
.LBB39_44:                              ;   in Loop: Header=BB39_31 Depth=1
	s_or_b32 exec_lo, exec_lo, s17
	s_and_saveexec_b32 s17, s13
	s_cbranch_execnz .LBB39_61
.LBB39_45:                              ;   in Loop: Header=BB39_31 Depth=1
	s_or_b32 exec_lo, exec_lo, s17
	s_and_saveexec_b32 s17, s14
	s_cbranch_execnz .LBB39_62
.LBB39_46:                              ;   in Loop: Header=BB39_31 Depth=1
	s_or_b32 exec_lo, exec_lo, s17
	s_and_saveexec_b32 s17, s15
	s_cbranch_execnz .LBB39_63
.LBB39_47:                              ;   in Loop: Header=BB39_31 Depth=1
	s_or_b32 exec_lo, exec_lo, s17
	s_and_saveexec_b32 s15, vcc_lo
	s_cbranch_execz .LBB39_30
	s_branch .LBB39_64
.LBB39_48:                              ;   in Loop: Header=BB39_31 Depth=1
	ds_read_b32 v9, v1 offset:32768
	s_waitcnt lgkmcnt(0)
	v_add_nc_u32_e32 v8, v9, v8
	s_or_b32 exec_lo, exec_lo, s17
	s_and_saveexec_b32 s17, s1
	s_cbranch_execz .LBB39_33
.LBB39_49:                              ;   in Loop: Header=BB39_31 Depth=1
	ds_read_b32 v9, v1 offset:32772
	s_waitcnt lgkmcnt(0)
	v_add_nc_u32_e32 v8, v9, v8
	s_or_b32 exec_lo, exec_lo, s17
	s_and_saveexec_b32 s17, s2
	s_cbranch_execz .LBB39_34
.LBB39_50:                              ;   in Loop: Header=BB39_31 Depth=1
	ds_read_b32 v9, v1 offset:32776
	s_waitcnt lgkmcnt(0)
	v_add_nc_u32_e32 v8, v9, v8
	s_or_b32 exec_lo, exec_lo, s17
	s_and_saveexec_b32 s17, s3
	s_cbranch_execz .LBB39_35
.LBB39_51:                              ;   in Loop: Header=BB39_31 Depth=1
	ds_read_b32 v9, v1 offset:32780
	s_waitcnt lgkmcnt(0)
	v_add_nc_u32_e32 v8, v9, v8
	s_or_b32 exec_lo, exec_lo, s17
	s_and_saveexec_b32 s17, s4
	s_cbranch_execz .LBB39_36
.LBB39_52:                              ;   in Loop: Header=BB39_31 Depth=1
	ds_read_b32 v9, v1 offset:32784
	s_waitcnt lgkmcnt(0)
	v_add_nc_u32_e32 v8, v9, v8
	s_or_b32 exec_lo, exec_lo, s17
	s_and_saveexec_b32 s17, s5
	s_cbranch_execz .LBB39_37
.LBB39_53:                              ;   in Loop: Header=BB39_31 Depth=1
	ds_read_b32 v9, v1 offset:32788
	s_waitcnt lgkmcnt(0)
	v_add_nc_u32_e32 v8, v9, v8
	s_or_b32 exec_lo, exec_lo, s17
	s_and_saveexec_b32 s17, s6
	s_cbranch_execz .LBB39_38
.LBB39_54:                              ;   in Loop: Header=BB39_31 Depth=1
	ds_read_b32 v9, v1 offset:32792
	s_waitcnt lgkmcnt(0)
	v_add_nc_u32_e32 v8, v9, v8
	s_or_b32 exec_lo, exec_lo, s17
	s_and_saveexec_b32 s17, s7
	s_cbranch_execz .LBB39_39
.LBB39_55:                              ;   in Loop: Header=BB39_31 Depth=1
	ds_read_b32 v9, v1 offset:32796
	s_waitcnt lgkmcnt(0)
	v_add_nc_u32_e32 v8, v9, v8
	s_or_b32 exec_lo, exec_lo, s17
	s_and_saveexec_b32 s17, s8
	s_cbranch_execz .LBB39_40
.LBB39_56:                              ;   in Loop: Header=BB39_31 Depth=1
	ds_read_b32 v9, v1 offset:32800
	s_waitcnt lgkmcnt(0)
	v_add_nc_u32_e32 v8, v9, v8
	s_or_b32 exec_lo, exec_lo, s17
	s_and_saveexec_b32 s17, s9
	s_cbranch_execz .LBB39_41
.LBB39_57:                              ;   in Loop: Header=BB39_31 Depth=1
	ds_read_b32 v9, v1 offset:32804
	s_waitcnt lgkmcnt(0)
	v_add_nc_u32_e32 v8, v9, v8
	s_or_b32 exec_lo, exec_lo, s17
	s_and_saveexec_b32 s17, s10
	s_cbranch_execz .LBB39_42
.LBB39_58:                              ;   in Loop: Header=BB39_31 Depth=1
	ds_read_b32 v9, v1 offset:32808
	s_waitcnt lgkmcnt(0)
	v_add_nc_u32_e32 v8, v9, v8
	s_or_b32 exec_lo, exec_lo, s17
	s_and_saveexec_b32 s17, s11
	s_cbranch_execz .LBB39_43
.LBB39_59:                              ;   in Loop: Header=BB39_31 Depth=1
	ds_read_b32 v9, v1 offset:32812
	s_waitcnt lgkmcnt(0)
	v_add_nc_u32_e32 v8, v9, v8
	s_or_b32 exec_lo, exec_lo, s17
	s_and_saveexec_b32 s17, s12
	s_cbranch_execz .LBB39_44
.LBB39_60:                              ;   in Loop: Header=BB39_31 Depth=1
	ds_read_b32 v9, v1 offset:32816
	s_waitcnt lgkmcnt(0)
	v_add_nc_u32_e32 v8, v9, v8
	s_or_b32 exec_lo, exec_lo, s17
	s_and_saveexec_b32 s17, s13
	s_cbranch_execz .LBB39_45
.LBB39_61:                              ;   in Loop: Header=BB39_31 Depth=1
	ds_read_b32 v9, v1 offset:32820
	s_waitcnt lgkmcnt(0)
	v_add_nc_u32_e32 v8, v9, v8
	s_or_b32 exec_lo, exec_lo, s17
	s_and_saveexec_b32 s17, s14
	s_cbranch_execz .LBB39_46
.LBB39_62:                              ;   in Loop: Header=BB39_31 Depth=1
	ds_read_b32 v9, v1 offset:32824
	s_waitcnt lgkmcnt(0)
	v_add_nc_u32_e32 v8, v9, v8
	s_or_b32 exec_lo, exec_lo, s17
	s_and_saveexec_b32 s17, s15
	s_cbranch_execz .LBB39_47
.LBB39_63:                              ;   in Loop: Header=BB39_31 Depth=1
	v_lshlrev_b32_e32 v9, 2, v5
	v_lshlrev_b32_e32 v10, 2, v8
	v_add_nc_u32_e32 v9, 0, v9
	v_add3_u32 v9, v9, v10, -4
	ds_write_b32 v9, v6
	s_or_b32 exec_lo, exec_lo, s17
	s_and_saveexec_b32 s15, vcc_lo
	s_cbranch_execz .LBB39_30
.LBB39_64:                              ;   in Loop: Header=BB39_31 Depth=1
	ds_write_b32 v1, v8 offset:32828
	s_branch .LBB39_30
.LBB39_65:
	s_or_b32 exec_lo, exec_lo, s16
	s_ashr_i32 s25, s24, 31
	s_mov_b32 s4, exec_lo
	s_lshl_b64 s[0:1], s[24:25], 3
	s_add_u32 s0, s20, s0
	s_addc_u32 s1, s21, s1
	s_load_dwordx4 s[0:3], s[0:1], 0x0
	s_waitcnt lgkmcnt(0)
	s_sub_i32 s3, s2, s0
	v_cmpx_gt_i32_e64 s3, v0
	s_cbranch_execz .LBB39_75
; %bb.66:
	s_sub_u32 s4, s0, s18
	s_subb_u32 s5, s1, 0
	s_sub_i32 s0, s0, s2
	s_and_b32 s1, s3, 7
	s_cmp_lt_u32 s0, -7
	s_mov_b32 s8, 0
	s_cselect_b32 s2, -1, 0
	s_and_b32 s6, s3, -8
	s_cmp_lg_u32 s1, 0
	s_cselect_b32 s7, -1, 0
	s_branch .LBB39_68
.LBB39_67:                              ;   in Loop: Header=BB39_68 Depth=1
	v_lshlrev_b64 v[1:2], 2, v[1:2]
	v_add_nc_u32_e32 v0, 0x400, v0
	s_waitcnt lgkmcnt(0)
	v_add_nc_u32_e32 v3, s18, v3
	v_cmp_le_i32_e32 vcc_lo, s3, v0
	v_add_co_u32 v1, s0, s22, v1
	v_add_co_ci_u32_e64 v2, null, s23, v2, s0
	s_or_b32 s8, vcc_lo, s8
	global_store_dword v[1:2], v3, off
	s_andn2_b32 exec_lo, exec_lo, s8
	s_cbranch_execz .LBB39_75
.LBB39_68:                              ; =>This Loop Header: Depth=1
                                        ;     Child Loop BB39_70 Depth 2
                                        ;     Child Loop BB39_74 Depth 2
	v_lshl_add_u32 v1, v0, 2, 0
	s_andn2_b32 vcc_lo, exec_lo, s2
	s_mov_b32 s0, 0
	ds_read_b32 v3, v1
	v_mov_b32_e32 v1, s4
	v_mov_b32_e32 v2, s5
	s_cbranch_vccnz .LBB39_72
; %bb.69:                               ;   in Loop: Header=BB39_68 Depth=1
	v_mov_b32_e32 v1, s4
	v_mov_b32_e32 v2, s5
	s_mov_b32 s9, 0
	s_mov_b32 s10, 0
.LBB39_70:                              ;   Parent Loop BB39_68 Depth=1
                                        ; =>  This Inner Loop Header: Depth=2
	v_mov_b32_e32 v10, s10
	s_add_i32 s9, s9, 8
	s_add_i32 s10, s10, 32
	s_cmp_eq_u32 s6, s9
	ds_read2_b32 v[4:5], v10 offset1:1
	ds_read2_b32 v[6:7], v10 offset0:2 offset1:3
	ds_read2_b32 v[8:9], v10 offset0:4 offset1:5
	;; [unrolled: 1-line block ×3, first 2 shown]
	s_waitcnt lgkmcnt(3)
	v_cmp_gt_i32_e32 vcc_lo, v3, v4
	v_cndmask_b32_e64 v4, 0, 1, vcc_lo
	v_cmp_gt_i32_e32 vcc_lo, v3, v5
	v_cndmask_b32_e64 v5, 0, 1, vcc_lo
	s_waitcnt lgkmcnt(2)
	v_cmp_gt_i32_e32 vcc_lo, v3, v6
	v_cndmask_b32_e64 v6, 0, 1, vcc_lo
	v_cmp_gt_i32_e32 vcc_lo, v3, v7
	v_cndmask_b32_e64 v7, 0, 1, vcc_lo
	s_waitcnt lgkmcnt(1)
	v_cmp_gt_i32_e32 vcc_lo, v3, v8
	v_cndmask_b32_e64 v8, 0, 1, vcc_lo
	v_add_co_u32 v1, vcc_lo, v1, v4
	v_add_co_ci_u32_e64 v2, null, 0, v2, vcc_lo
	v_cmp_gt_i32_e32 vcc_lo, v3, v9
	v_add_co_u32 v1, s0, v1, v5
	v_add_co_ci_u32_e64 v2, null, 0, v2, s0
	v_cndmask_b32_e64 v4, 0, 1, vcc_lo
	v_add_co_u32 v1, vcc_lo, v1, v6
	v_add_co_ci_u32_e64 v2, null, 0, v2, vcc_lo
	s_waitcnt lgkmcnt(0)
	v_cmp_gt_i32_e32 vcc_lo, v3, v10
	v_add_co_u32 v1, s0, v1, v7
	v_add_co_ci_u32_e64 v2, null, 0, v2, s0
	v_cndmask_b32_e64 v5, 0, 1, vcc_lo
	v_add_co_u32 v1, vcc_lo, v1, v8
	v_add_co_ci_u32_e64 v2, null, 0, v2, vcc_lo
	v_cmp_gt_i32_e32 vcc_lo, v3, v11
	v_add_co_u32 v1, s0, v1, v4
	v_add_co_ci_u32_e64 v2, null, 0, v2, s0
	v_cndmask_b32_e64 v4, 0, 1, vcc_lo
	v_add_co_u32 v1, vcc_lo, v1, v5
	v_add_co_ci_u32_e64 v2, null, 0, v2, vcc_lo
	v_add_co_u32 v1, vcc_lo, v1, v4
	v_add_co_ci_u32_e64 v2, null, 0, v2, vcc_lo
	s_cbranch_scc0 .LBB39_70
; %bb.71:                               ;   in Loop: Header=BB39_68 Depth=1
	s_mov_b32 s0, s6
.LBB39_72:                              ;   in Loop: Header=BB39_68 Depth=1
	s_andn2_b32 vcc_lo, exec_lo, s7
	s_cbranch_vccnz .LBB39_67
; %bb.73:                               ;   in Loop: Header=BB39_68 Depth=1
	s_lshl_b32 s0, s0, 2
	s_mov_b32 s9, s1
	s_add_i32 s0, s0, 0
.LBB39_74:                              ;   Parent Loop BB39_68 Depth=1
                                        ; =>  This Inner Loop Header: Depth=2
	v_mov_b32_e32 v4, s0
	s_add_i32 s9, s9, -1
	s_add_i32 s0, s0, 4
	s_cmp_lg_u32 s9, 0
	ds_read_b32 v4, v4
	s_waitcnt lgkmcnt(0)
	v_cmp_gt_i32_e32 vcc_lo, v3, v4
	v_cndmask_b32_e64 v4, 0, 1, vcc_lo
	v_add_co_u32 v1, vcc_lo, v1, v4
	v_add_co_ci_u32_e64 v2, null, 0, v2, vcc_lo
	s_cbranch_scc1 .LBB39_74
	s_branch .LBB39_67
.LBB39_75:
	s_endpgm
	.section	.rodata,"a",@progbits
	.p2align	6, 0x0
	.amdhsa_kernel _ZN9rocsparseL35csrgemm_symbolic_fill_block_per_rowILj1024ELj64ELj8192ELj137ELj64EliEEvT5_PKS1_S3_PKT4_S3_S6_S3_S6_S3_S6_PS1_21rocsparse_index_base_S8_S8_S8_bb
		.amdhsa_group_segment_fixed_size 0
		.amdhsa_private_segment_fixed_size 0
		.amdhsa_kernarg_size 108
		.amdhsa_user_sgpr_count 6
		.amdhsa_user_sgpr_private_segment_buffer 1
		.amdhsa_user_sgpr_dispatch_ptr 0
		.amdhsa_user_sgpr_queue_ptr 0
		.amdhsa_user_sgpr_kernarg_segment_ptr 1
		.amdhsa_user_sgpr_dispatch_id 0
		.amdhsa_user_sgpr_flat_scratch_init 0
		.amdhsa_user_sgpr_private_segment_size 0
		.amdhsa_wavefront_size32 1
		.amdhsa_uses_dynamic_stack 0
		.amdhsa_system_sgpr_private_segment_wavefront_offset 0
		.amdhsa_system_sgpr_workgroup_id_x 1
		.amdhsa_system_sgpr_workgroup_id_y 0
		.amdhsa_system_sgpr_workgroup_id_z 0
		.amdhsa_system_sgpr_workgroup_info 0
		.amdhsa_system_vgpr_workitem_id 0
		.amdhsa_next_free_vgpr 15
		.amdhsa_next_free_sgpr 27
		.amdhsa_reserve_vcc 1
		.amdhsa_reserve_flat_scratch 0
		.amdhsa_float_round_mode_32 0
		.amdhsa_float_round_mode_16_64 0
		.amdhsa_float_denorm_mode_32 3
		.amdhsa_float_denorm_mode_16_64 3
		.amdhsa_dx10_clamp 1
		.amdhsa_ieee_mode 1
		.amdhsa_fp16_overflow 0
		.amdhsa_workgroup_processor_mode 1
		.amdhsa_memory_ordered 1
		.amdhsa_forward_progress 1
		.amdhsa_shared_vgpr_count 0
		.amdhsa_exception_fp_ieee_invalid_op 0
		.amdhsa_exception_fp_denorm_src 0
		.amdhsa_exception_fp_ieee_div_zero 0
		.amdhsa_exception_fp_ieee_overflow 0
		.amdhsa_exception_fp_ieee_underflow 0
		.amdhsa_exception_fp_ieee_inexact 0
		.amdhsa_exception_int_div_zero 0
	.end_amdhsa_kernel
	.section	.text._ZN9rocsparseL35csrgemm_symbolic_fill_block_per_rowILj1024ELj64ELj8192ELj137ELj64EliEEvT5_PKS1_S3_PKT4_S3_S6_S3_S6_S3_S6_PS1_21rocsparse_index_base_S8_S8_S8_bb,"axG",@progbits,_ZN9rocsparseL35csrgemm_symbolic_fill_block_per_rowILj1024ELj64ELj8192ELj137ELj64EliEEvT5_PKS1_S3_PKT4_S3_S6_S3_S6_S3_S6_PS1_21rocsparse_index_base_S8_S8_S8_bb,comdat
.Lfunc_end39:
	.size	_ZN9rocsparseL35csrgemm_symbolic_fill_block_per_rowILj1024ELj64ELj8192ELj137ELj64EliEEvT5_PKS1_S3_PKT4_S3_S6_S3_S6_S3_S6_PS1_21rocsparse_index_base_S8_S8_S8_bb, .Lfunc_end39-_ZN9rocsparseL35csrgemm_symbolic_fill_block_per_rowILj1024ELj64ELj8192ELj137ELj64EliEEvT5_PKS1_S3_PKT4_S3_S6_S3_S6_S3_S6_PS1_21rocsparse_index_base_S8_S8_S8_bb
                                        ; -- End function
	.set _ZN9rocsparseL35csrgemm_symbolic_fill_block_per_rowILj1024ELj64ELj8192ELj137ELj64EliEEvT5_PKS1_S3_PKT4_S3_S6_S3_S6_S3_S6_PS1_21rocsparse_index_base_S8_S8_S8_bb.num_vgpr, 15
	.set _ZN9rocsparseL35csrgemm_symbolic_fill_block_per_rowILj1024ELj64ELj8192ELj137ELj64EliEEvT5_PKS1_S3_PKT4_S3_S6_S3_S6_S3_S6_PS1_21rocsparse_index_base_S8_S8_S8_bb.num_agpr, 0
	.set _ZN9rocsparseL35csrgemm_symbolic_fill_block_per_rowILj1024ELj64ELj8192ELj137ELj64EliEEvT5_PKS1_S3_PKT4_S3_S6_S3_S6_S3_S6_PS1_21rocsparse_index_base_S8_S8_S8_bb.numbered_sgpr, 27
	.set _ZN9rocsparseL35csrgemm_symbolic_fill_block_per_rowILj1024ELj64ELj8192ELj137ELj64EliEEvT5_PKS1_S3_PKT4_S3_S6_S3_S6_S3_S6_PS1_21rocsparse_index_base_S8_S8_S8_bb.num_named_barrier, 0
	.set _ZN9rocsparseL35csrgemm_symbolic_fill_block_per_rowILj1024ELj64ELj8192ELj137ELj64EliEEvT5_PKS1_S3_PKT4_S3_S6_S3_S6_S3_S6_PS1_21rocsparse_index_base_S8_S8_S8_bb.private_seg_size, 0
	.set _ZN9rocsparseL35csrgemm_symbolic_fill_block_per_rowILj1024ELj64ELj8192ELj137ELj64EliEEvT5_PKS1_S3_PKT4_S3_S6_S3_S6_S3_S6_PS1_21rocsparse_index_base_S8_S8_S8_bb.uses_vcc, 1
	.set _ZN9rocsparseL35csrgemm_symbolic_fill_block_per_rowILj1024ELj64ELj8192ELj137ELj64EliEEvT5_PKS1_S3_PKT4_S3_S6_S3_S6_S3_S6_PS1_21rocsparse_index_base_S8_S8_S8_bb.uses_flat_scratch, 0
	.set _ZN9rocsparseL35csrgemm_symbolic_fill_block_per_rowILj1024ELj64ELj8192ELj137ELj64EliEEvT5_PKS1_S3_PKT4_S3_S6_S3_S6_S3_S6_PS1_21rocsparse_index_base_S8_S8_S8_bb.has_dyn_sized_stack, 0
	.set _ZN9rocsparseL35csrgemm_symbolic_fill_block_per_rowILj1024ELj64ELj8192ELj137ELj64EliEEvT5_PKS1_S3_PKT4_S3_S6_S3_S6_S3_S6_PS1_21rocsparse_index_base_S8_S8_S8_bb.has_recursion, 0
	.set _ZN9rocsparseL35csrgemm_symbolic_fill_block_per_rowILj1024ELj64ELj8192ELj137ELj64EliEEvT5_PKS1_S3_PKT4_S3_S6_S3_S6_S3_S6_PS1_21rocsparse_index_base_S8_S8_S8_bb.has_indirect_call, 0
	.section	.AMDGPU.csdata,"",@progbits
; Kernel info:
; codeLenInByte = 2920
; TotalNumSgprs: 29
; NumVgprs: 15
; ScratchSize: 0
; MemoryBound: 0
; FloatMode: 240
; IeeeMode: 1
; LDSByteSize: 0 bytes/workgroup (compile time only)
; SGPRBlocks: 0
; VGPRBlocks: 1
; NumSGPRsForWavesPerEU: 29
; NumVGPRsForWavesPerEU: 15
; Occupancy: 16
; WaveLimiterHint : 1
; COMPUTE_PGM_RSRC2:SCRATCH_EN: 0
; COMPUTE_PGM_RSRC2:USER_SGPR: 6
; COMPUTE_PGM_RSRC2:TRAP_HANDLER: 0
; COMPUTE_PGM_RSRC2:TGID_X_EN: 1
; COMPUTE_PGM_RSRC2:TGID_Y_EN: 0
; COMPUTE_PGM_RSRC2:TGID_Z_EN: 0
; COMPUTE_PGM_RSRC2:TIDIG_COMP_CNT: 0
	.section	.text._ZN9rocsparseL35csrgemm_symbolic_fill_block_per_rowILj1024ELj64ELj16384ELj137ELj32EliEEvT5_PKS1_S3_PKT4_S3_S6_S3_S6_S3_S6_PS1_21rocsparse_index_base_S8_S8_S8_bb,"axG",@progbits,_ZN9rocsparseL35csrgemm_symbolic_fill_block_per_rowILj1024ELj64ELj16384ELj137ELj32EliEEvT5_PKS1_S3_PKT4_S3_S6_S3_S6_S3_S6_PS1_21rocsparse_index_base_S8_S8_S8_bb,comdat
	.globl	_ZN9rocsparseL35csrgemm_symbolic_fill_block_per_rowILj1024ELj64ELj16384ELj137ELj32EliEEvT5_PKS1_S3_PKT4_S3_S6_S3_S6_S3_S6_PS1_21rocsparse_index_base_S8_S8_S8_bb ; -- Begin function _ZN9rocsparseL35csrgemm_symbolic_fill_block_per_rowILj1024ELj64ELj16384ELj137ELj32EliEEvT5_PKS1_S3_PKT4_S3_S6_S3_S6_S3_S6_PS1_21rocsparse_index_base_S8_S8_S8_bb
	.p2align	8
	.type	_ZN9rocsparseL35csrgemm_symbolic_fill_block_per_rowILj1024ELj64ELj16384ELj137ELj32EliEEvT5_PKS1_S3_PKT4_S3_S6_S3_S6_S3_S6_PS1_21rocsparse_index_base_S8_S8_S8_bb,@function
_ZN9rocsparseL35csrgemm_symbolic_fill_block_per_rowILj1024ELj64ELj16384ELj137ELj32EliEEvT5_PKS1_S3_PKT4_S3_S6_S3_S6_S3_S6_PS1_21rocsparse_index_base_S8_S8_S8_bb: ; @_ZN9rocsparseL35csrgemm_symbolic_fill_block_per_rowILj1024ELj64ELj16384ELj137ELj32EliEEvT5_PKS1_S3_PKT4_S3_S6_S3_S6_S3_S6_PS1_21rocsparse_index_base_S8_S8_S8_bb
; %bb.0:
	s_clause 0x3
	s_load_dword s33, s[4:5], 0x0
	s_load_dwordx4 s[36:39], s[4:5], 0x48
	s_load_dwordx8 s[8:15], s[4:5], 0x28
	s_load_dwordx8 s[16:23], s[4:5], 0x8
	v_lshl_add_u32 v7, v0, 2, 0
	v_or_b32_e32 v8, 0xfffffc00, v0
	s_mov_b32 s0, 0
	v_mov_b32_e32 v1, v7
	v_mov_b32_e32 v3, v8
	s_waitcnt lgkmcnt(0)
	v_mov_b32_e32 v2, s33
.LBB40_1:                               ; =>This Inner Loop Header: Depth=1
	v_add_nc_u32_e32 v3, 0x400, v3
	ds_write_b32 v1, v2
	v_add_nc_u32_e32 v1, 0x1000, v1
	v_cmp_lt_u32_e32 vcc_lo, 0x3bff, v3
	s_or_b32 s0, vcc_lo, s0
	s_andn2_b32 exec_lo, exec_lo, s0
	s_cbranch_execnz .LBB40_1
; %bb.2:
	s_or_b32 exec_lo, exec_lo, s0
	s_load_dword s2, s[4:5], 0x68
	s_waitcnt lgkmcnt(0)
	s_barrier
	buffer_gl0_inv
	s_load_dword s0, s[16:17], 0x0
	s_mov_b32 s1, 0
	s_bitcmp1_b32 s2, 0
	s_cselect_b32 s3, -1, 0
	s_waitcnt lgkmcnt(0)
	s_add_i32 s0, s0, s6
	s_lshl_b64 s[0:1], s[0:1], 2
	s_add_u32 s0, s18, s0
	s_addc_u32 s1, s19, s1
	s_load_dwordx4 s[40:43], s[4:5], 0x58
	s_load_dword s34, s[0:1], 0x0
	s_and_b32 vcc_lo, exec_lo, s3
	s_cbranch_vccz .LBB40_18
; %bb.3:
	s_waitcnt lgkmcnt(0)
	s_ashr_i32 s35, s34, 31
	v_lshrrev_b32_e32 v1, 6, v0
	s_lshl_b64 s[0:1], s[34:35], 3
	s_mov_b32 s3, exec_lo
	s_add_u32 s0, s20, s0
	s_addc_u32 s1, s21, s1
	s_load_dwordx4 s[4:7], s[0:1], 0x0
	v_sub_co_u32 v1, s0, v1, s40
	v_sub_co_ci_u32_e64 v2, null, 0, 0, s0
	s_waitcnt lgkmcnt(0)
	v_add_co_u32 v1, vcc_lo, s4, v1
	v_add_co_ci_u32_e64 v2, null, s5, v2, vcc_lo
	s_sub_u32 s0, s6, s40
	s_subb_u32 s1, s7, 0
	v_cmpx_gt_i64_e64 s[0:1], v[1:2]
	s_cbranch_execz .LBB40_17
; %bb.4:
	v_and_b32_e32 v3, 63, v0
	s_mov_b32 s5, s41
	v_sub_co_u32 v9, s4, v3, s41
	v_sub_co_ci_u32_e64 v10, null, 0, 0, s4
	s_mov_b32 s4, 0
	s_branch .LBB40_6
.LBB40_5:                               ;   in Loop: Header=BB40_6 Depth=1
	s_or_b32 exec_lo, exec_lo, s6
	v_add_co_u32 v1, vcc_lo, v1, 16
	v_add_co_ci_u32_e64 v2, null, 0, v2, vcc_lo
	v_cmp_le_i64_e32 vcc_lo, s[0:1], v[1:2]
	s_or_b32 s4, vcc_lo, s4
	s_andn2_b32 exec_lo, exec_lo, s4
	s_cbranch_execz .LBB40_17
.LBB40_6:                               ; =>This Loop Header: Depth=1
                                        ;     Child Loop BB40_9 Depth 2
                                        ;       Child Loop BB40_12 Depth 3
	v_lshlrev_b64 v[3:4], 2, v[1:2]
	s_mov_b32 s6, exec_lo
	v_add_co_u32 v3, vcc_lo, s22, v3
	v_add_co_ci_u32_e64 v4, null, s23, v4, vcc_lo
	global_load_dword v3, v[3:4], off
	s_waitcnt vmcnt(0)
	v_subrev_nc_u32_e32 v3, s40, v3
	v_ashrrev_i32_e32 v4, 31, v3
	v_lshlrev_b64 v[3:4], 3, v[3:4]
	v_add_co_u32 v3, vcc_lo, s8, v3
	v_add_co_ci_u32_e64 v4, null, s9, v4, vcc_lo
	global_load_dwordx4 v[11:14], v[3:4], off
	s_waitcnt vmcnt(0)
	v_sub_co_u32 v3, vcc_lo, v13, s5
	v_subrev_co_ci_u32_e64 v4, null, 0, v14, vcc_lo
	v_add_co_u32 v5, vcc_lo, v11, v9
	v_add_co_ci_u32_e64 v6, null, v12, v10, vcc_lo
	v_cmpx_lt_i64_e64 v[5:6], v[3:4]
	s_cbranch_execz .LBB40_5
; %bb.7:                                ;   in Loop: Header=BB40_6 Depth=1
	s_mov_b32 s7, 0
	s_branch .LBB40_9
.LBB40_8:                               ;   in Loop: Header=BB40_9 Depth=2
	s_inst_prefetch 0x2
	s_or_b32 exec_lo, exec_lo, s16
	v_add_co_u32 v5, vcc_lo, v5, 64
	v_add_co_ci_u32_e64 v6, null, 0, v6, vcc_lo
	v_cmp_ge_i64_e32 vcc_lo, v[5:6], v[3:4]
	s_or_b32 s7, vcc_lo, s7
	s_andn2_b32 exec_lo, exec_lo, s7
	s_cbranch_execz .LBB40_5
.LBB40_9:                               ;   Parent Loop BB40_6 Depth=1
                                        ; =>  This Loop Header: Depth=2
                                        ;       Child Loop BB40_12 Depth 3
	v_lshlrev_b64 v[11:12], 2, v[5:6]
	s_mov_b32 s16, 0
                                        ; implicit-def: $sgpr17
	v_add_co_u32 v11, vcc_lo, s10, v11
	v_add_co_ci_u32_e64 v12, null, s11, v12, vcc_lo
	global_load_dword v11, v[11:12], off
	s_waitcnt vmcnt(0)
	v_subrev_nc_u32_e32 v11, s41, v11
	v_mul_lo_u32 v12, 0x89, v11
	v_and_b32_e32 v12, 0x3fff, v12
	s_inst_prefetch 0x1
	s_branch .LBB40_12
	.p2align	6
.LBB40_10:                              ;   in Loop: Header=BB40_12 Depth=3
	s_or_b32 exec_lo, exec_lo, s19
	s_andn2_b32 s17, s17, exec_lo
	s_and_b32 s19, s20, exec_lo
	s_or_b32 s17, s17, s19
.LBB40_11:                              ;   in Loop: Header=BB40_12 Depth=3
	s_or_b32 exec_lo, exec_lo, s18
	s_xor_b32 s18, s17, -1
	s_and_b32 s18, exec_lo, s18
	s_or_b32 s16, s18, s16
	s_andn2_b32 exec_lo, exec_lo, s16
	s_cbranch_execz .LBB40_8
.LBB40_12:                              ;   Parent Loop BB40_6 Depth=1
                                        ;     Parent Loop BB40_9 Depth=2
                                        ; =>    This Inner Loop Header: Depth=3
	v_lshl_add_u32 v13, v12, 2, 0
	s_andn2_b32 s17, s17, exec_lo
	s_mov_b32 s18, exec_lo
	ds_read_b32 v14, v13
	s_waitcnt lgkmcnt(0)
	v_cmpx_ne_u32_e64 v14, v11
	s_cbranch_execz .LBB40_11
; %bb.13:                               ;   in Loop: Header=BB40_12 Depth=3
	s_mov_b32 s19, exec_lo
	v_cmpx_ne_u32_e64 s33, v14
	s_xor_b32 s19, exec_lo, s19
; %bb.14:                               ;   in Loop: Header=BB40_12 Depth=3
	v_add_nc_u32_e32 v12, 1, v12
                                        ; implicit-def: $vgpr13
	v_and_b32_e32 v12, 0x3fff, v12
; %bb.15:                               ;   in Loop: Header=BB40_12 Depth=3
	s_or_saveexec_b32 s19, s19
	s_mov_b32 s20, -1
	s_xor_b32 exec_lo, exec_lo, s19
	s_cbranch_execz .LBB40_10
; %bb.16:                               ;   in Loop: Header=BB40_12 Depth=3
	v_mov_b32_e32 v14, s33
	ds_cmpst_rtn_b32 v13, v13, v14, v11
	s_waitcnt lgkmcnt(0)
	v_cmp_ne_u32_e32 vcc_lo, s33, v13
	s_orn2_b32 s20, vcc_lo, exec_lo
	s_branch .LBB40_10
.LBB40_17:
	s_or_b32 exec_lo, exec_lo, s3
.LBB40_18:
	s_bfe_u32 s0, s2, 0x10008
	s_cmp_eq_u32 s0, 0
	s_cbranch_scc1 .LBB40_21
; %bb.19:
	s_waitcnt lgkmcnt(0)
	s_ashr_i32 s35, s34, 31
	v_sub_co_u32 v1, s4, v0, s43
	s_lshl_b64 s[0:1], s[34:35], 3
	v_sub_co_ci_u32_e64 v2, null, 0, 0, s4
	s_add_u32 s0, s12, s0
	s_addc_u32 s1, s13, s1
	s_load_dwordx4 s[0:3], s[0:1], 0x0
	s_waitcnt lgkmcnt(0)
	v_add_co_u32 v1, vcc_lo, s0, v1
	v_add_co_ci_u32_e64 v2, null, s1, v2, vcc_lo
	s_sub_u32 s0, s2, s43
	s_subb_u32 s1, s3, 0
	s_mov_b32 s3, 0
	s_mov_b32 s2, exec_lo
	v_cmpx_gt_i64_e64 s[0:1], v[1:2]
	s_cbranch_execnz .LBB40_90
.LBB40_20:
	s_or_b32 exec_lo, exec_lo, s2
.LBB40_21:
	v_mbcnt_lo_u32_b32 v1, -1, 0
	v_lshrrev_b32_e32 v2, 3, v0
	v_cmp_lt_u32_e64 s0, 31, v0
	v_cmp_lt_u32_e64 s1, 63, v0
	;; [unrolled: 1-line block ×3, first 2 shown]
	v_xor_b32_e32 v3, 31, v1
	v_and_b32_e32 v4, 0x7c, v2
	v_mov_b32_e32 v1, 0
	v_cmp_lt_u32_e64 s3, 0x7f, v0
	v_cmp_lt_u32_e64 s4, 0x9f, v0
	v_lshrrev_b32_e64 v2, v3, -1
	v_add3_u32 v3, 0x10000, 0, v4
	v_cmp_lt_u32_e64 s5, 0xbf, v0
	v_cmp_lt_u32_e64 s6, 0xdf, v0
	;; [unrolled: 1-line block ×26, first 2 shown]
	s_mov_b32 s35, 0
	s_waitcnt lgkmcnt(0)
	s_add_i32 s40, 0, 0x10000
	s_add_i32 s41, 0, 0x10004
	;; [unrolled: 1-line block ×32, first 2 shown]
	s_barrier
	v_cmp_eq_u32_e32 vcc_lo, 0x3ff, v0
	buffer_gl0_inv
	s_branch .LBB40_23
.LBB40_22:                              ;   in Loop: Header=BB40_23 Depth=1
	s_or_b32 exec_lo, exec_lo, s31
	v_mov_b32_e32 v4, s72
	s_waitcnt lgkmcnt(0)
	s_barrier
	buffer_gl0_inv
	v_add_nc_u32_e32 v8, 0x400, v8
	ds_read_b32 v4, v4
	v_add_nc_u32_e32 v7, 0x1000, v7
	v_cmp_lt_u32_e64 s31, 0x3bff, v8
	s_or_b32 s35, s31, s35
	s_waitcnt lgkmcnt(0)
	v_add_nc_u32_e32 v1, v4, v1
	s_andn2_b32 exec_lo, exec_lo, s35
	s_cbranch_execz .LBB40_98
.LBB40_23:                              ; =>This Inner Loop Header: Depth=1
	ds_read_b32 v4, v7
	s_waitcnt lgkmcnt(0)
	s_barrier
	buffer_gl0_inv
	v_cmp_gt_i32_e64 s31, s33, v4
	v_and_b32_e32 v5, s31, v2
	s_bcnt1_i32_b32 s73, s31
	v_mov_b32_e32 v6, s73
	v_bcnt_u32_b32 v5, v5, 0
	ds_write_b32 v3, v6
	s_waitcnt lgkmcnt(0)
	s_barrier
	buffer_gl0_inv
	s_and_saveexec_b32 s73, s0
	s_cbranch_execnz .LBB40_56
; %bb.24:                               ;   in Loop: Header=BB40_23 Depth=1
	s_or_b32 exec_lo, exec_lo, s73
	s_and_saveexec_b32 s73, s1
	s_cbranch_execnz .LBB40_57
.LBB40_25:                              ;   in Loop: Header=BB40_23 Depth=1
	s_or_b32 exec_lo, exec_lo, s73
	s_and_saveexec_b32 s73, s2
	s_cbranch_execnz .LBB40_58
.LBB40_26:                              ;   in Loop: Header=BB40_23 Depth=1
	s_or_b32 exec_lo, exec_lo, s73
	s_and_saveexec_b32 s73, s3
	s_cbranch_execnz .LBB40_59
.LBB40_27:                              ;   in Loop: Header=BB40_23 Depth=1
	s_or_b32 exec_lo, exec_lo, s73
	s_and_saveexec_b32 s73, s4
	s_cbranch_execnz .LBB40_60
.LBB40_28:                              ;   in Loop: Header=BB40_23 Depth=1
	s_or_b32 exec_lo, exec_lo, s73
	s_and_saveexec_b32 s73, s5
	s_cbranch_execnz .LBB40_61
.LBB40_29:                              ;   in Loop: Header=BB40_23 Depth=1
	s_or_b32 exec_lo, exec_lo, s73
	s_and_saveexec_b32 s73, s6
	s_cbranch_execnz .LBB40_62
.LBB40_30:                              ;   in Loop: Header=BB40_23 Depth=1
	s_or_b32 exec_lo, exec_lo, s73
	s_and_saveexec_b32 s73, s7
	s_cbranch_execnz .LBB40_63
.LBB40_31:                              ;   in Loop: Header=BB40_23 Depth=1
	s_or_b32 exec_lo, exec_lo, s73
	s_and_saveexec_b32 s73, s8
	s_cbranch_execnz .LBB40_64
.LBB40_32:                              ;   in Loop: Header=BB40_23 Depth=1
	s_or_b32 exec_lo, exec_lo, s73
	s_and_saveexec_b32 s73, s9
	s_cbranch_execnz .LBB40_65
.LBB40_33:                              ;   in Loop: Header=BB40_23 Depth=1
	s_or_b32 exec_lo, exec_lo, s73
	s_and_saveexec_b32 s73, s10
	s_cbranch_execnz .LBB40_66
.LBB40_34:                              ;   in Loop: Header=BB40_23 Depth=1
	s_or_b32 exec_lo, exec_lo, s73
	s_and_saveexec_b32 s73, s11
	s_cbranch_execnz .LBB40_67
.LBB40_35:                              ;   in Loop: Header=BB40_23 Depth=1
	s_or_b32 exec_lo, exec_lo, s73
	s_and_saveexec_b32 s73, s12
	s_cbranch_execnz .LBB40_68
.LBB40_36:                              ;   in Loop: Header=BB40_23 Depth=1
	s_or_b32 exec_lo, exec_lo, s73
	s_and_saveexec_b32 s73, s13
	s_cbranch_execnz .LBB40_69
.LBB40_37:                              ;   in Loop: Header=BB40_23 Depth=1
	s_or_b32 exec_lo, exec_lo, s73
	s_and_saveexec_b32 s73, s14
	s_cbranch_execnz .LBB40_70
.LBB40_38:                              ;   in Loop: Header=BB40_23 Depth=1
	s_or_b32 exec_lo, exec_lo, s73
	s_and_saveexec_b32 s73, s15
	s_cbranch_execnz .LBB40_71
.LBB40_39:                              ;   in Loop: Header=BB40_23 Depth=1
	s_or_b32 exec_lo, exec_lo, s73
	s_and_saveexec_b32 s73, s16
	s_cbranch_execnz .LBB40_72
.LBB40_40:                              ;   in Loop: Header=BB40_23 Depth=1
	s_or_b32 exec_lo, exec_lo, s73
	s_and_saveexec_b32 s73, s17
	s_cbranch_execnz .LBB40_73
.LBB40_41:                              ;   in Loop: Header=BB40_23 Depth=1
	s_or_b32 exec_lo, exec_lo, s73
	s_and_saveexec_b32 s73, s18
	s_cbranch_execnz .LBB40_74
.LBB40_42:                              ;   in Loop: Header=BB40_23 Depth=1
	s_or_b32 exec_lo, exec_lo, s73
	s_and_saveexec_b32 s73, s19
	s_cbranch_execnz .LBB40_75
.LBB40_43:                              ;   in Loop: Header=BB40_23 Depth=1
	s_or_b32 exec_lo, exec_lo, s73
	s_and_saveexec_b32 s73, s20
	s_cbranch_execnz .LBB40_76
.LBB40_44:                              ;   in Loop: Header=BB40_23 Depth=1
	s_or_b32 exec_lo, exec_lo, s73
	s_and_saveexec_b32 s73, s21
	s_cbranch_execnz .LBB40_77
.LBB40_45:                              ;   in Loop: Header=BB40_23 Depth=1
	s_or_b32 exec_lo, exec_lo, s73
	s_and_saveexec_b32 s73, s22
	s_cbranch_execnz .LBB40_78
.LBB40_46:                              ;   in Loop: Header=BB40_23 Depth=1
	s_or_b32 exec_lo, exec_lo, s73
	s_and_saveexec_b32 s73, s23
	s_cbranch_execnz .LBB40_79
.LBB40_47:                              ;   in Loop: Header=BB40_23 Depth=1
	s_or_b32 exec_lo, exec_lo, s73
	s_and_saveexec_b32 s73, s24
	s_cbranch_execnz .LBB40_80
.LBB40_48:                              ;   in Loop: Header=BB40_23 Depth=1
	s_or_b32 exec_lo, exec_lo, s73
	s_and_saveexec_b32 s73, s25
	s_cbranch_execnz .LBB40_81
.LBB40_49:                              ;   in Loop: Header=BB40_23 Depth=1
	s_or_b32 exec_lo, exec_lo, s73
	s_and_saveexec_b32 s73, s26
	s_cbranch_execnz .LBB40_82
.LBB40_50:                              ;   in Loop: Header=BB40_23 Depth=1
	s_or_b32 exec_lo, exec_lo, s73
	s_and_saveexec_b32 s73, s27
	s_cbranch_execnz .LBB40_83
.LBB40_51:                              ;   in Loop: Header=BB40_23 Depth=1
	s_or_b32 exec_lo, exec_lo, s73
	s_and_saveexec_b32 s73, s28
	s_cbranch_execnz .LBB40_84
.LBB40_52:                              ;   in Loop: Header=BB40_23 Depth=1
	s_or_b32 exec_lo, exec_lo, s73
	s_and_saveexec_b32 s73, s29
	s_cbranch_execnz .LBB40_85
.LBB40_53:                              ;   in Loop: Header=BB40_23 Depth=1
	s_or_b32 exec_lo, exec_lo, s73
	s_and_saveexec_b32 s73, s30
	s_cbranch_execnz .LBB40_86
.LBB40_54:                              ;   in Loop: Header=BB40_23 Depth=1
	s_or_b32 exec_lo, exec_lo, s73
	s_and_saveexec_b32 s73, s31
	s_cbranch_execnz .LBB40_87
.LBB40_55:                              ;   in Loop: Header=BB40_23 Depth=1
	s_or_b32 exec_lo, exec_lo, s73
	s_and_saveexec_b32 s31, vcc_lo
	s_cbranch_execz .LBB40_22
	s_branch .LBB40_88
.LBB40_56:                              ;   in Loop: Header=BB40_23 Depth=1
	v_mov_b32_e32 v6, s40
	ds_read_b32 v6, v6
	s_waitcnt lgkmcnt(0)
	v_add_nc_u32_e32 v5, v6, v5
	s_or_b32 exec_lo, exec_lo, s73
	s_and_saveexec_b32 s73, s1
	s_cbranch_execz .LBB40_25
.LBB40_57:                              ;   in Loop: Header=BB40_23 Depth=1
	v_mov_b32_e32 v6, s41
	ds_read_b32 v6, v6
	s_waitcnt lgkmcnt(0)
	v_add_nc_u32_e32 v5, v6, v5
	s_or_b32 exec_lo, exec_lo, s73
	s_and_saveexec_b32 s73, s2
	s_cbranch_execz .LBB40_26
.LBB40_58:                              ;   in Loop: Header=BB40_23 Depth=1
	v_mov_b32_e32 v6, s43
	ds_read_b32 v6, v6
	s_waitcnt lgkmcnt(0)
	v_add_nc_u32_e32 v5, v6, v5
	s_or_b32 exec_lo, exec_lo, s73
	s_and_saveexec_b32 s73, s3
	s_cbranch_execz .LBB40_27
.LBB40_59:                              ;   in Loop: Header=BB40_23 Depth=1
	v_mov_b32_e32 v6, s44
	ds_read_b32 v6, v6
	s_waitcnt lgkmcnt(0)
	v_add_nc_u32_e32 v5, v6, v5
	s_or_b32 exec_lo, exec_lo, s73
	s_and_saveexec_b32 s73, s4
	s_cbranch_execz .LBB40_28
.LBB40_60:                              ;   in Loop: Header=BB40_23 Depth=1
	v_mov_b32_e32 v6, s45
	ds_read_b32 v6, v6
	s_waitcnt lgkmcnt(0)
	v_add_nc_u32_e32 v5, v6, v5
	s_or_b32 exec_lo, exec_lo, s73
	s_and_saveexec_b32 s73, s5
	s_cbranch_execz .LBB40_29
.LBB40_61:                              ;   in Loop: Header=BB40_23 Depth=1
	v_mov_b32_e32 v6, s46
	ds_read_b32 v6, v6
	s_waitcnt lgkmcnt(0)
	v_add_nc_u32_e32 v5, v6, v5
	s_or_b32 exec_lo, exec_lo, s73
	s_and_saveexec_b32 s73, s6
	s_cbranch_execz .LBB40_30
.LBB40_62:                              ;   in Loop: Header=BB40_23 Depth=1
	v_mov_b32_e32 v6, s47
	ds_read_b32 v6, v6
	s_waitcnt lgkmcnt(0)
	v_add_nc_u32_e32 v5, v6, v5
	s_or_b32 exec_lo, exec_lo, s73
	s_and_saveexec_b32 s73, s7
	s_cbranch_execz .LBB40_31
.LBB40_63:                              ;   in Loop: Header=BB40_23 Depth=1
	v_mov_b32_e32 v6, s48
	ds_read_b32 v6, v6
	s_waitcnt lgkmcnt(0)
	v_add_nc_u32_e32 v5, v6, v5
	s_or_b32 exec_lo, exec_lo, s73
	s_and_saveexec_b32 s73, s8
	s_cbranch_execz .LBB40_32
.LBB40_64:                              ;   in Loop: Header=BB40_23 Depth=1
	v_mov_b32_e32 v6, s49
	ds_read_b32 v6, v6
	s_waitcnt lgkmcnt(0)
	v_add_nc_u32_e32 v5, v6, v5
	s_or_b32 exec_lo, exec_lo, s73
	s_and_saveexec_b32 s73, s9
	s_cbranch_execz .LBB40_33
.LBB40_65:                              ;   in Loop: Header=BB40_23 Depth=1
	v_mov_b32_e32 v6, s50
	ds_read_b32 v6, v6
	s_waitcnt lgkmcnt(0)
	v_add_nc_u32_e32 v5, v6, v5
	s_or_b32 exec_lo, exec_lo, s73
	s_and_saveexec_b32 s73, s10
	s_cbranch_execz .LBB40_34
.LBB40_66:                              ;   in Loop: Header=BB40_23 Depth=1
	v_mov_b32_e32 v6, s51
	ds_read_b32 v6, v6
	s_waitcnt lgkmcnt(0)
	v_add_nc_u32_e32 v5, v6, v5
	s_or_b32 exec_lo, exec_lo, s73
	s_and_saveexec_b32 s73, s11
	s_cbranch_execz .LBB40_35
.LBB40_67:                              ;   in Loop: Header=BB40_23 Depth=1
	v_mov_b32_e32 v6, s52
	ds_read_b32 v6, v6
	s_waitcnt lgkmcnt(0)
	v_add_nc_u32_e32 v5, v6, v5
	s_or_b32 exec_lo, exec_lo, s73
	s_and_saveexec_b32 s73, s12
	s_cbranch_execz .LBB40_36
.LBB40_68:                              ;   in Loop: Header=BB40_23 Depth=1
	v_mov_b32_e32 v6, s53
	ds_read_b32 v6, v6
	s_waitcnt lgkmcnt(0)
	v_add_nc_u32_e32 v5, v6, v5
	s_or_b32 exec_lo, exec_lo, s73
	s_and_saveexec_b32 s73, s13
	s_cbranch_execz .LBB40_37
.LBB40_69:                              ;   in Loop: Header=BB40_23 Depth=1
	v_mov_b32_e32 v6, s54
	ds_read_b32 v6, v6
	s_waitcnt lgkmcnt(0)
	v_add_nc_u32_e32 v5, v6, v5
	s_or_b32 exec_lo, exec_lo, s73
	s_and_saveexec_b32 s73, s14
	s_cbranch_execz .LBB40_38
.LBB40_70:                              ;   in Loop: Header=BB40_23 Depth=1
	v_mov_b32_e32 v6, s55
	ds_read_b32 v6, v6
	s_waitcnt lgkmcnt(0)
	v_add_nc_u32_e32 v5, v6, v5
	s_or_b32 exec_lo, exec_lo, s73
	s_and_saveexec_b32 s73, s15
	s_cbranch_execz .LBB40_39
.LBB40_71:                              ;   in Loop: Header=BB40_23 Depth=1
	v_mov_b32_e32 v6, s56
	ds_read_b32 v6, v6
	s_waitcnt lgkmcnt(0)
	v_add_nc_u32_e32 v5, v6, v5
	s_or_b32 exec_lo, exec_lo, s73
	s_and_saveexec_b32 s73, s16
	s_cbranch_execz .LBB40_40
.LBB40_72:                              ;   in Loop: Header=BB40_23 Depth=1
	v_mov_b32_e32 v6, s57
	ds_read_b32 v6, v6
	s_waitcnt lgkmcnt(0)
	v_add_nc_u32_e32 v5, v6, v5
	s_or_b32 exec_lo, exec_lo, s73
	s_and_saveexec_b32 s73, s17
	s_cbranch_execz .LBB40_41
.LBB40_73:                              ;   in Loop: Header=BB40_23 Depth=1
	v_mov_b32_e32 v6, s58
	ds_read_b32 v6, v6
	s_waitcnt lgkmcnt(0)
	v_add_nc_u32_e32 v5, v6, v5
	s_or_b32 exec_lo, exec_lo, s73
	s_and_saveexec_b32 s73, s18
	s_cbranch_execz .LBB40_42
.LBB40_74:                              ;   in Loop: Header=BB40_23 Depth=1
	v_mov_b32_e32 v6, s59
	ds_read_b32 v6, v6
	s_waitcnt lgkmcnt(0)
	v_add_nc_u32_e32 v5, v6, v5
	s_or_b32 exec_lo, exec_lo, s73
	s_and_saveexec_b32 s73, s19
	s_cbranch_execz .LBB40_43
.LBB40_75:                              ;   in Loop: Header=BB40_23 Depth=1
	v_mov_b32_e32 v6, s60
	ds_read_b32 v6, v6
	s_waitcnt lgkmcnt(0)
	v_add_nc_u32_e32 v5, v6, v5
	s_or_b32 exec_lo, exec_lo, s73
	s_and_saveexec_b32 s73, s20
	s_cbranch_execz .LBB40_44
.LBB40_76:                              ;   in Loop: Header=BB40_23 Depth=1
	v_mov_b32_e32 v6, s61
	ds_read_b32 v6, v6
	s_waitcnt lgkmcnt(0)
	v_add_nc_u32_e32 v5, v6, v5
	s_or_b32 exec_lo, exec_lo, s73
	s_and_saveexec_b32 s73, s21
	s_cbranch_execz .LBB40_45
.LBB40_77:                              ;   in Loop: Header=BB40_23 Depth=1
	v_mov_b32_e32 v6, s62
	ds_read_b32 v6, v6
	s_waitcnt lgkmcnt(0)
	v_add_nc_u32_e32 v5, v6, v5
	s_or_b32 exec_lo, exec_lo, s73
	s_and_saveexec_b32 s73, s22
	s_cbranch_execz .LBB40_46
.LBB40_78:                              ;   in Loop: Header=BB40_23 Depth=1
	v_mov_b32_e32 v6, s63
	ds_read_b32 v6, v6
	s_waitcnt lgkmcnt(0)
	v_add_nc_u32_e32 v5, v6, v5
	s_or_b32 exec_lo, exec_lo, s73
	s_and_saveexec_b32 s73, s23
	s_cbranch_execz .LBB40_47
.LBB40_79:                              ;   in Loop: Header=BB40_23 Depth=1
	v_mov_b32_e32 v6, s64
	ds_read_b32 v6, v6
	s_waitcnt lgkmcnt(0)
	v_add_nc_u32_e32 v5, v6, v5
	s_or_b32 exec_lo, exec_lo, s73
	s_and_saveexec_b32 s73, s24
	s_cbranch_execz .LBB40_48
.LBB40_80:                              ;   in Loop: Header=BB40_23 Depth=1
	v_mov_b32_e32 v6, s65
	ds_read_b32 v6, v6
	s_waitcnt lgkmcnt(0)
	v_add_nc_u32_e32 v5, v6, v5
	s_or_b32 exec_lo, exec_lo, s73
	s_and_saveexec_b32 s73, s25
	s_cbranch_execz .LBB40_49
.LBB40_81:                              ;   in Loop: Header=BB40_23 Depth=1
	v_mov_b32_e32 v6, s66
	ds_read_b32 v6, v6
	s_waitcnt lgkmcnt(0)
	v_add_nc_u32_e32 v5, v6, v5
	s_or_b32 exec_lo, exec_lo, s73
	s_and_saveexec_b32 s73, s26
	s_cbranch_execz .LBB40_50
.LBB40_82:                              ;   in Loop: Header=BB40_23 Depth=1
	v_mov_b32_e32 v6, s67
	ds_read_b32 v6, v6
	s_waitcnt lgkmcnt(0)
	v_add_nc_u32_e32 v5, v6, v5
	s_or_b32 exec_lo, exec_lo, s73
	s_and_saveexec_b32 s73, s27
	s_cbranch_execz .LBB40_51
.LBB40_83:                              ;   in Loop: Header=BB40_23 Depth=1
	v_mov_b32_e32 v6, s68
	ds_read_b32 v6, v6
	s_waitcnt lgkmcnt(0)
	v_add_nc_u32_e32 v5, v6, v5
	s_or_b32 exec_lo, exec_lo, s73
	s_and_saveexec_b32 s73, s28
	s_cbranch_execz .LBB40_52
.LBB40_84:                              ;   in Loop: Header=BB40_23 Depth=1
	v_mov_b32_e32 v6, s69
	ds_read_b32 v6, v6
	s_waitcnt lgkmcnt(0)
	v_add_nc_u32_e32 v5, v6, v5
	s_or_b32 exec_lo, exec_lo, s73
	s_and_saveexec_b32 s73, s29
	s_cbranch_execz .LBB40_53
.LBB40_85:                              ;   in Loop: Header=BB40_23 Depth=1
	v_mov_b32_e32 v6, s70
	ds_read_b32 v6, v6
	s_waitcnt lgkmcnt(0)
	v_add_nc_u32_e32 v5, v6, v5
	s_or_b32 exec_lo, exec_lo, s73
	s_and_saveexec_b32 s73, s30
	s_cbranch_execz .LBB40_54
.LBB40_86:                              ;   in Loop: Header=BB40_23 Depth=1
	v_mov_b32_e32 v6, s71
	ds_read_b32 v6, v6
	s_waitcnt lgkmcnt(0)
	v_add_nc_u32_e32 v5, v6, v5
	s_or_b32 exec_lo, exec_lo, s73
	s_and_saveexec_b32 s73, s31
	s_cbranch_execz .LBB40_55
.LBB40_87:                              ;   in Loop: Header=BB40_23 Depth=1
	v_lshlrev_b32_e32 v6, 2, v1
	v_lshlrev_b32_e32 v9, 2, v5
	v_add_nc_u32_e32 v6, 0, v6
	v_add3_u32 v6, v6, v9, -4
	ds_write_b32 v6, v4
	s_or_b32 exec_lo, exec_lo, s73
	s_and_saveexec_b32 s31, vcc_lo
	s_cbranch_execz .LBB40_22
.LBB40_88:                              ;   in Loop: Header=BB40_23 Depth=1
	v_mov_b32_e32 v4, s72
	ds_write_b32 v4, v5
	s_branch .LBB40_22
.LBB40_89:                              ;   in Loop: Header=BB40_90 Depth=1
	s_inst_prefetch 0x2
	s_or_b32 exec_lo, exec_lo, s4
	v_add_co_u32 v1, vcc_lo, 0x400, v1
	v_add_co_ci_u32_e64 v2, null, 0, v2, vcc_lo
	v_cmp_le_i64_e32 vcc_lo, s[0:1], v[1:2]
	s_or_b32 s3, vcc_lo, s3
	s_andn2_b32 exec_lo, exec_lo, s3
	s_cbranch_execz .LBB40_20
.LBB40_90:                              ; =>This Loop Header: Depth=1
                                        ;     Child Loop BB40_93 Depth 2
	v_lshlrev_b64 v[3:4], 2, v[1:2]
	s_mov_b32 s4, 0
                                        ; implicit-def: $sgpr5
	v_add_co_u32 v3, vcc_lo, s14, v3
	v_add_co_ci_u32_e64 v4, null, s15, v4, vcc_lo
	global_load_dword v3, v[3:4], off
	s_waitcnt vmcnt(0)
	v_subrev_nc_u32_e32 v3, s43, v3
	v_mul_lo_u32 v4, 0x89, v3
	v_and_b32_e32 v4, 0x3fff, v4
	s_inst_prefetch 0x1
	s_branch .LBB40_93
	.p2align	6
.LBB40_91:                              ;   in Loop: Header=BB40_93 Depth=2
	s_or_b32 exec_lo, exec_lo, s7
	s_andn2_b32 s5, s5, exec_lo
	s_and_b32 s7, s8, exec_lo
	s_or_b32 s5, s5, s7
.LBB40_92:                              ;   in Loop: Header=BB40_93 Depth=2
	s_or_b32 exec_lo, exec_lo, s6
	s_xor_b32 s6, s5, -1
	s_and_b32 s6, exec_lo, s6
	s_or_b32 s4, s6, s4
	s_andn2_b32 exec_lo, exec_lo, s4
	s_cbranch_execz .LBB40_89
.LBB40_93:                              ;   Parent Loop BB40_90 Depth=1
                                        ; =>  This Inner Loop Header: Depth=2
	v_lshl_add_u32 v5, v4, 2, 0
	s_andn2_b32 s5, s5, exec_lo
	s_mov_b32 s6, exec_lo
	ds_read_b32 v6, v5
	s_waitcnt lgkmcnt(0)
	v_cmpx_ne_u32_e64 v6, v3
	s_cbranch_execz .LBB40_92
; %bb.94:                               ;   in Loop: Header=BB40_93 Depth=2
	s_mov_b32 s7, exec_lo
	v_cmpx_ne_u32_e64 s33, v6
	s_xor_b32 s7, exec_lo, s7
; %bb.95:                               ;   in Loop: Header=BB40_93 Depth=2
	v_add_nc_u32_e32 v4, 1, v4
                                        ; implicit-def: $vgpr5
	v_and_b32_e32 v4, 0x3fff, v4
; %bb.96:                               ;   in Loop: Header=BB40_93 Depth=2
	s_or_saveexec_b32 s7, s7
	s_mov_b32 s8, -1
	s_xor_b32 exec_lo, exec_lo, s7
	s_cbranch_execz .LBB40_91
; %bb.97:                               ;   in Loop: Header=BB40_93 Depth=2
	v_mov_b32_e32 v6, s33
	ds_cmpst_rtn_b32 v5, v5, v6, v3
	s_waitcnt lgkmcnt(0)
	v_cmp_ne_u32_e32 vcc_lo, s33, v5
	s_orn2_b32 s8, vcc_lo, exec_lo
	s_branch .LBB40_91
.LBB40_98:
	s_or_b32 exec_lo, exec_lo, s35
	s_ashr_i32 s35, s34, 31
	s_mov_b32 s4, exec_lo
	s_lshl_b64 s[0:1], s[34:35], 3
	s_add_u32 s0, s36, s0
	s_addc_u32 s1, s37, s1
	s_load_dwordx4 s[0:3], s[0:1], 0x0
	s_waitcnt lgkmcnt(0)
	s_sub_i32 s3, s2, s0
	v_cmpx_gt_i32_e64 s3, v0
	s_cbranch_execz .LBB40_108
; %bb.99:
	s_sub_u32 s4, s0, s42
	s_subb_u32 s5, s1, 0
	s_sub_i32 s0, s0, s2
	s_and_b32 s1, s3, 7
	s_cmp_lt_u32 s0, -7
	s_mov_b32 s8, 0
	s_cselect_b32 s2, -1, 0
	s_and_b32 s6, s3, -8
	s_cmp_lg_u32 s1, 0
	s_cselect_b32 s7, -1, 0
	s_branch .LBB40_101
.LBB40_100:                             ;   in Loop: Header=BB40_101 Depth=1
	v_lshlrev_b64 v[1:2], 2, v[1:2]
	v_add_nc_u32_e32 v0, 0x400, v0
	s_waitcnt lgkmcnt(0)
	v_add_nc_u32_e32 v3, s42, v3
	v_cmp_le_i32_e32 vcc_lo, s3, v0
	v_add_co_u32 v1, s0, s38, v1
	v_add_co_ci_u32_e64 v2, null, s39, v2, s0
	s_or_b32 s8, vcc_lo, s8
	global_store_dword v[1:2], v3, off
	s_andn2_b32 exec_lo, exec_lo, s8
	s_cbranch_execz .LBB40_108
.LBB40_101:                             ; =>This Loop Header: Depth=1
                                        ;     Child Loop BB40_103 Depth 2
                                        ;     Child Loop BB40_107 Depth 2
	v_lshl_add_u32 v1, v0, 2, 0
	s_andn2_b32 vcc_lo, exec_lo, s2
	s_mov_b32 s0, 0
	ds_read_b32 v3, v1
	v_mov_b32_e32 v1, s4
	v_mov_b32_e32 v2, s5
	s_cbranch_vccnz .LBB40_105
; %bb.102:                              ;   in Loop: Header=BB40_101 Depth=1
	v_mov_b32_e32 v1, s4
	v_mov_b32_e32 v2, s5
	s_mov_b32 s9, 0
	s_mov_b32 s10, 0
.LBB40_103:                             ;   Parent Loop BB40_101 Depth=1
                                        ; =>  This Inner Loop Header: Depth=2
	v_mov_b32_e32 v10, s10
	s_add_i32 s9, s9, 8
	s_add_i32 s10, s10, 32
	s_cmp_eq_u32 s6, s9
	ds_read2_b32 v[4:5], v10 offset1:1
	ds_read2_b32 v[6:7], v10 offset0:2 offset1:3
	ds_read2_b32 v[8:9], v10 offset0:4 offset1:5
	;; [unrolled: 1-line block ×3, first 2 shown]
	s_waitcnt lgkmcnt(3)
	v_cmp_gt_i32_e32 vcc_lo, v3, v4
	v_cndmask_b32_e64 v4, 0, 1, vcc_lo
	v_cmp_gt_i32_e32 vcc_lo, v3, v5
	v_cndmask_b32_e64 v5, 0, 1, vcc_lo
	s_waitcnt lgkmcnt(2)
	v_cmp_gt_i32_e32 vcc_lo, v3, v6
	v_cndmask_b32_e64 v6, 0, 1, vcc_lo
	v_cmp_gt_i32_e32 vcc_lo, v3, v7
	v_cndmask_b32_e64 v7, 0, 1, vcc_lo
	s_waitcnt lgkmcnt(1)
	v_cmp_gt_i32_e32 vcc_lo, v3, v8
	v_cndmask_b32_e64 v8, 0, 1, vcc_lo
	v_add_co_u32 v1, vcc_lo, v1, v4
	v_add_co_ci_u32_e64 v2, null, 0, v2, vcc_lo
	v_cmp_gt_i32_e32 vcc_lo, v3, v9
	v_add_co_u32 v1, s0, v1, v5
	v_add_co_ci_u32_e64 v2, null, 0, v2, s0
	v_cndmask_b32_e64 v4, 0, 1, vcc_lo
	v_add_co_u32 v1, vcc_lo, v1, v6
	v_add_co_ci_u32_e64 v2, null, 0, v2, vcc_lo
	s_waitcnt lgkmcnt(0)
	v_cmp_gt_i32_e32 vcc_lo, v3, v10
	v_add_co_u32 v1, s0, v1, v7
	v_add_co_ci_u32_e64 v2, null, 0, v2, s0
	v_cndmask_b32_e64 v5, 0, 1, vcc_lo
	v_add_co_u32 v1, vcc_lo, v1, v8
	v_add_co_ci_u32_e64 v2, null, 0, v2, vcc_lo
	v_cmp_gt_i32_e32 vcc_lo, v3, v11
	v_add_co_u32 v1, s0, v1, v4
	v_add_co_ci_u32_e64 v2, null, 0, v2, s0
	v_cndmask_b32_e64 v4, 0, 1, vcc_lo
	v_add_co_u32 v1, vcc_lo, v1, v5
	v_add_co_ci_u32_e64 v2, null, 0, v2, vcc_lo
	v_add_co_u32 v1, vcc_lo, v1, v4
	v_add_co_ci_u32_e64 v2, null, 0, v2, vcc_lo
	s_cbranch_scc0 .LBB40_103
; %bb.104:                              ;   in Loop: Header=BB40_101 Depth=1
	s_mov_b32 s0, s6
.LBB40_105:                             ;   in Loop: Header=BB40_101 Depth=1
	s_andn2_b32 vcc_lo, exec_lo, s7
	s_cbranch_vccnz .LBB40_100
; %bb.106:                              ;   in Loop: Header=BB40_101 Depth=1
	s_lshl_b32 s0, s0, 2
	s_mov_b32 s9, s1
	s_add_i32 s0, s0, 0
.LBB40_107:                             ;   Parent Loop BB40_101 Depth=1
                                        ; =>  This Inner Loop Header: Depth=2
	v_mov_b32_e32 v4, s0
	s_add_i32 s9, s9, -1
	s_add_i32 s0, s0, 4
	s_cmp_lg_u32 s9, 0
	ds_read_b32 v4, v4
	s_waitcnt lgkmcnt(0)
	v_cmp_gt_i32_e32 vcc_lo, v3, v4
	v_cndmask_b32_e64 v4, 0, 1, vcc_lo
	v_add_co_u32 v1, vcc_lo, v1, v4
	v_add_co_ci_u32_e64 v2, null, 0, v2, vcc_lo
	s_cbranch_scc1 .LBB40_107
	s_branch .LBB40_100
.LBB40_108:
	s_endpgm
	.section	.rodata,"a",@progbits
	.p2align	6, 0x0
	.amdhsa_kernel _ZN9rocsparseL35csrgemm_symbolic_fill_block_per_rowILj1024ELj64ELj16384ELj137ELj32EliEEvT5_PKS1_S3_PKT4_S3_S6_S3_S6_S3_S6_PS1_21rocsparse_index_base_S8_S8_S8_bb
		.amdhsa_group_segment_fixed_size 0
		.amdhsa_private_segment_fixed_size 0
		.amdhsa_kernarg_size 108
		.amdhsa_user_sgpr_count 6
		.amdhsa_user_sgpr_private_segment_buffer 1
		.amdhsa_user_sgpr_dispatch_ptr 0
		.amdhsa_user_sgpr_queue_ptr 0
		.amdhsa_user_sgpr_kernarg_segment_ptr 1
		.amdhsa_user_sgpr_dispatch_id 0
		.amdhsa_user_sgpr_flat_scratch_init 0
		.amdhsa_user_sgpr_private_segment_size 0
		.amdhsa_wavefront_size32 1
		.amdhsa_uses_dynamic_stack 0
		.amdhsa_system_sgpr_private_segment_wavefront_offset 0
		.amdhsa_system_sgpr_workgroup_id_x 1
		.amdhsa_system_sgpr_workgroup_id_y 0
		.amdhsa_system_sgpr_workgroup_id_z 0
		.amdhsa_system_sgpr_workgroup_info 0
		.amdhsa_system_vgpr_workitem_id 0
		.amdhsa_next_free_vgpr 15
		.amdhsa_next_free_sgpr 74
		.amdhsa_reserve_vcc 1
		.amdhsa_reserve_flat_scratch 0
		.amdhsa_float_round_mode_32 0
		.amdhsa_float_round_mode_16_64 0
		.amdhsa_float_denorm_mode_32 3
		.amdhsa_float_denorm_mode_16_64 3
		.amdhsa_dx10_clamp 1
		.amdhsa_ieee_mode 1
		.amdhsa_fp16_overflow 0
		.amdhsa_workgroup_processor_mode 1
		.amdhsa_memory_ordered 1
		.amdhsa_forward_progress 1
		.amdhsa_shared_vgpr_count 0
		.amdhsa_exception_fp_ieee_invalid_op 0
		.amdhsa_exception_fp_denorm_src 0
		.amdhsa_exception_fp_ieee_div_zero 0
		.amdhsa_exception_fp_ieee_overflow 0
		.amdhsa_exception_fp_ieee_underflow 0
		.amdhsa_exception_fp_ieee_inexact 0
		.amdhsa_exception_int_div_zero 0
	.end_amdhsa_kernel
	.section	.text._ZN9rocsparseL35csrgemm_symbolic_fill_block_per_rowILj1024ELj64ELj16384ELj137ELj32EliEEvT5_PKS1_S3_PKT4_S3_S6_S3_S6_S3_S6_PS1_21rocsparse_index_base_S8_S8_S8_bb,"axG",@progbits,_ZN9rocsparseL35csrgemm_symbolic_fill_block_per_rowILj1024ELj64ELj16384ELj137ELj32EliEEvT5_PKS1_S3_PKT4_S3_S6_S3_S6_S3_S6_PS1_21rocsparse_index_base_S8_S8_S8_bb,comdat
.Lfunc_end40:
	.size	_ZN9rocsparseL35csrgemm_symbolic_fill_block_per_rowILj1024ELj64ELj16384ELj137ELj32EliEEvT5_PKS1_S3_PKT4_S3_S6_S3_S6_S3_S6_PS1_21rocsparse_index_base_S8_S8_S8_bb, .Lfunc_end40-_ZN9rocsparseL35csrgemm_symbolic_fill_block_per_rowILj1024ELj64ELj16384ELj137ELj32EliEEvT5_PKS1_S3_PKT4_S3_S6_S3_S6_S3_S6_PS1_21rocsparse_index_base_S8_S8_S8_bb
                                        ; -- End function
	.set _ZN9rocsparseL35csrgemm_symbolic_fill_block_per_rowILj1024ELj64ELj16384ELj137ELj32EliEEvT5_PKS1_S3_PKT4_S3_S6_S3_S6_S3_S6_PS1_21rocsparse_index_base_S8_S8_S8_bb.num_vgpr, 15
	.set _ZN9rocsparseL35csrgemm_symbolic_fill_block_per_rowILj1024ELj64ELj16384ELj137ELj32EliEEvT5_PKS1_S3_PKT4_S3_S6_S3_S6_S3_S6_PS1_21rocsparse_index_base_S8_S8_S8_bb.num_agpr, 0
	.set _ZN9rocsparseL35csrgemm_symbolic_fill_block_per_rowILj1024ELj64ELj16384ELj137ELj32EliEEvT5_PKS1_S3_PKT4_S3_S6_S3_S6_S3_S6_PS1_21rocsparse_index_base_S8_S8_S8_bb.numbered_sgpr, 74
	.set _ZN9rocsparseL35csrgemm_symbolic_fill_block_per_rowILj1024ELj64ELj16384ELj137ELj32EliEEvT5_PKS1_S3_PKT4_S3_S6_S3_S6_S3_S6_PS1_21rocsparse_index_base_S8_S8_S8_bb.num_named_barrier, 0
	.set _ZN9rocsparseL35csrgemm_symbolic_fill_block_per_rowILj1024ELj64ELj16384ELj137ELj32EliEEvT5_PKS1_S3_PKT4_S3_S6_S3_S6_S3_S6_PS1_21rocsparse_index_base_S8_S8_S8_bb.private_seg_size, 0
	.set _ZN9rocsparseL35csrgemm_symbolic_fill_block_per_rowILj1024ELj64ELj16384ELj137ELj32EliEEvT5_PKS1_S3_PKT4_S3_S6_S3_S6_S3_S6_PS1_21rocsparse_index_base_S8_S8_S8_bb.uses_vcc, 1
	.set _ZN9rocsparseL35csrgemm_symbolic_fill_block_per_rowILj1024ELj64ELj16384ELj137ELj32EliEEvT5_PKS1_S3_PKT4_S3_S6_S3_S6_S3_S6_PS1_21rocsparse_index_base_S8_S8_S8_bb.uses_flat_scratch, 0
	.set _ZN9rocsparseL35csrgemm_symbolic_fill_block_per_rowILj1024ELj64ELj16384ELj137ELj32EliEEvT5_PKS1_S3_PKT4_S3_S6_S3_S6_S3_S6_PS1_21rocsparse_index_base_S8_S8_S8_bb.has_dyn_sized_stack, 0
	.set _ZN9rocsparseL35csrgemm_symbolic_fill_block_per_rowILj1024ELj64ELj16384ELj137ELj32EliEEvT5_PKS1_S3_PKT4_S3_S6_S3_S6_S3_S6_PS1_21rocsparse_index_base_S8_S8_S8_bb.has_recursion, 0
	.set _ZN9rocsparseL35csrgemm_symbolic_fill_block_per_rowILj1024ELj64ELj16384ELj137ELj32EliEEvT5_PKS1_S3_PKT4_S3_S6_S3_S6_S3_S6_PS1_21rocsparse_index_base_S8_S8_S8_bb.has_indirect_call, 0
	.section	.AMDGPU.csdata,"",@progbits
; Kernel info:
; codeLenInByte = 4076
; TotalNumSgprs: 76
; NumVgprs: 15
; ScratchSize: 0
; MemoryBound: 0
; FloatMode: 240
; IeeeMode: 1
; LDSByteSize: 0 bytes/workgroup (compile time only)
; SGPRBlocks: 0
; VGPRBlocks: 1
; NumSGPRsForWavesPerEU: 76
; NumVGPRsForWavesPerEU: 15
; Occupancy: 16
; WaveLimiterHint : 1
; COMPUTE_PGM_RSRC2:SCRATCH_EN: 0
; COMPUTE_PGM_RSRC2:USER_SGPR: 6
; COMPUTE_PGM_RSRC2:TRAP_HANDLER: 0
; COMPUTE_PGM_RSRC2:TGID_X_EN: 1
; COMPUTE_PGM_RSRC2:TGID_Y_EN: 0
; COMPUTE_PGM_RSRC2:TGID_Z_EN: 0
; COMPUTE_PGM_RSRC2:TIDIG_COMP_CNT: 0
	.section	.text._ZN9rocsparseL35csrgemm_symbolic_fill_block_per_rowILj1024ELj64ELj16384ELj137ELj64EliEEvT5_PKS1_S3_PKT4_S3_S6_S3_S6_S3_S6_PS1_21rocsparse_index_base_S8_S8_S8_bb,"axG",@progbits,_ZN9rocsparseL35csrgemm_symbolic_fill_block_per_rowILj1024ELj64ELj16384ELj137ELj64EliEEvT5_PKS1_S3_PKT4_S3_S6_S3_S6_S3_S6_PS1_21rocsparse_index_base_S8_S8_S8_bb,comdat
	.globl	_ZN9rocsparseL35csrgemm_symbolic_fill_block_per_rowILj1024ELj64ELj16384ELj137ELj64EliEEvT5_PKS1_S3_PKT4_S3_S6_S3_S6_S3_S6_PS1_21rocsparse_index_base_S8_S8_S8_bb ; -- Begin function _ZN9rocsparseL35csrgemm_symbolic_fill_block_per_rowILj1024ELj64ELj16384ELj137ELj64EliEEvT5_PKS1_S3_PKT4_S3_S6_S3_S6_S3_S6_PS1_21rocsparse_index_base_S8_S8_S8_bb
	.p2align	8
	.type	_ZN9rocsparseL35csrgemm_symbolic_fill_block_per_rowILj1024ELj64ELj16384ELj137ELj64EliEEvT5_PKS1_S3_PKT4_S3_S6_S3_S6_S3_S6_PS1_21rocsparse_index_base_S8_S8_S8_bb,@function
_ZN9rocsparseL35csrgemm_symbolic_fill_block_per_rowILj1024ELj64ELj16384ELj137ELj64EliEEvT5_PKS1_S3_PKT4_S3_S6_S3_S6_S3_S6_PS1_21rocsparse_index_base_S8_S8_S8_bb: ; @_ZN9rocsparseL35csrgemm_symbolic_fill_block_per_rowILj1024ELj64ELj16384ELj137ELj64EliEEvT5_PKS1_S3_PKT4_S3_S6_S3_S6_S3_S6_PS1_21rocsparse_index_base_S8_S8_S8_bb
; %bb.0:
	s_clause 0x3
	s_load_dword s30, s[4:5], 0x0
	s_load_dwordx4 s[24:27], s[4:5], 0x48
	s_load_dwordx8 s[8:15], s[4:5], 0x28
	s_load_dwordx8 s[16:23], s[4:5], 0x8
	v_lshl_add_u32 v7, v0, 2, 0
	v_or_b32_e32 v8, 0xfffffc00, v0
	s_mov_b32 s0, 0
	v_mov_b32_e32 v1, v7
	v_mov_b32_e32 v3, v8
	s_waitcnt lgkmcnt(0)
	v_mov_b32_e32 v2, s30
.LBB41_1:                               ; =>This Inner Loop Header: Depth=1
	v_add_nc_u32_e32 v3, 0x400, v3
	ds_write_b32 v1, v2
	v_add_nc_u32_e32 v1, 0x1000, v1
	v_cmp_lt_u32_e32 vcc_lo, 0x3bff, v3
	s_or_b32 s0, vcc_lo, s0
	s_andn2_b32 exec_lo, exec_lo, s0
	s_cbranch_execnz .LBB41_1
; %bb.2:
	s_or_b32 exec_lo, exec_lo, s0
	s_load_dword s2, s[4:5], 0x68
	s_waitcnt lgkmcnt(0)
	s_barrier
	buffer_gl0_inv
	s_load_dword s0, s[16:17], 0x0
	s_mov_b32 s1, 0
	v_lshrrev_b32_e32 v9, 6, v0
	s_bitcmp1_b32 s2, 0
	s_cselect_b32 s3, -1, 0
	s_waitcnt lgkmcnt(0)
	s_add_i32 s0, s0, s6
	s_lshl_b64 s[0:1], s[0:1], 2
	s_add_u32 s0, s18, s0
	s_addc_u32 s1, s19, s1
	s_load_dwordx4 s[16:19], s[4:5], 0x58
	s_load_dword s28, s[0:1], 0x0
	s_and_b32 vcc_lo, exec_lo, s3
	s_cbranch_vccz .LBB41_18
; %bb.3:
	s_waitcnt lgkmcnt(0)
	s_ashr_i32 s29, s28, 31
	s_mov_b32 s3, exec_lo
	s_lshl_b64 s[0:1], s[28:29], 3
	s_add_u32 s0, s20, s0
	s_addc_u32 s1, s21, s1
	s_load_dwordx4 s[4:7], s[0:1], 0x0
	v_sub_co_u32 v1, s0, v9, s16
	v_sub_co_ci_u32_e64 v2, null, 0, 0, s0
	s_waitcnt lgkmcnt(0)
	v_add_co_u32 v1, vcc_lo, s4, v1
	v_add_co_ci_u32_e64 v2, null, s5, v2, vcc_lo
	s_sub_u32 s0, s6, s16
	s_subb_u32 s1, s7, 0
	v_cmpx_gt_i64_e64 s[0:1], v[1:2]
	s_cbranch_execz .LBB41_17
; %bb.4:
	v_and_b32_e32 v3, 63, v0
	s_mov_b32 s5, s17
	v_sub_co_u32 v10, s4, v3, s17
	v_sub_co_ci_u32_e64 v11, null, 0, 0, s4
	s_mov_b32 s4, 0
	s_branch .LBB41_6
.LBB41_5:                               ;   in Loop: Header=BB41_6 Depth=1
	s_or_b32 exec_lo, exec_lo, s6
	v_add_co_u32 v1, vcc_lo, v1, 16
	v_add_co_ci_u32_e64 v2, null, 0, v2, vcc_lo
	v_cmp_le_i64_e32 vcc_lo, s[0:1], v[1:2]
	s_or_b32 s4, vcc_lo, s4
	s_andn2_b32 exec_lo, exec_lo, s4
	s_cbranch_execz .LBB41_17
.LBB41_6:                               ; =>This Loop Header: Depth=1
                                        ;     Child Loop BB41_9 Depth 2
                                        ;       Child Loop BB41_12 Depth 3
	v_lshlrev_b64 v[3:4], 2, v[1:2]
	s_mov_b32 s6, exec_lo
	v_add_co_u32 v3, vcc_lo, s22, v3
	v_add_co_ci_u32_e64 v4, null, s23, v4, vcc_lo
	global_load_dword v3, v[3:4], off
	s_waitcnt vmcnt(0)
	v_subrev_nc_u32_e32 v3, s16, v3
	v_ashrrev_i32_e32 v4, 31, v3
	v_lshlrev_b64 v[3:4], 3, v[3:4]
	v_add_co_u32 v3, vcc_lo, s8, v3
	v_add_co_ci_u32_e64 v4, null, s9, v4, vcc_lo
	global_load_dwordx4 v[12:15], v[3:4], off
	s_waitcnt vmcnt(0)
	v_sub_co_u32 v3, vcc_lo, v14, s5
	v_subrev_co_ci_u32_e64 v4, null, 0, v15, vcc_lo
	v_add_co_u32 v5, vcc_lo, v12, v10
	v_add_co_ci_u32_e64 v6, null, v13, v11, vcc_lo
	v_cmpx_lt_i64_e64 v[5:6], v[3:4]
	s_cbranch_execz .LBB41_5
; %bb.7:                                ;   in Loop: Header=BB41_6 Depth=1
	s_mov_b32 s7, 0
	s_branch .LBB41_9
.LBB41_8:                               ;   in Loop: Header=BB41_9 Depth=2
	s_inst_prefetch 0x2
	s_or_b32 exec_lo, exec_lo, s20
	v_add_co_u32 v5, vcc_lo, v5, 64
	v_add_co_ci_u32_e64 v6, null, 0, v6, vcc_lo
	v_cmp_ge_i64_e32 vcc_lo, v[5:6], v[3:4]
	s_or_b32 s7, vcc_lo, s7
	s_andn2_b32 exec_lo, exec_lo, s7
	s_cbranch_execz .LBB41_5
.LBB41_9:                               ;   Parent Loop BB41_6 Depth=1
                                        ; =>  This Loop Header: Depth=2
                                        ;       Child Loop BB41_12 Depth 3
	v_lshlrev_b64 v[12:13], 2, v[5:6]
	s_mov_b32 s20, 0
                                        ; implicit-def: $sgpr21
	v_add_co_u32 v12, vcc_lo, s10, v12
	v_add_co_ci_u32_e64 v13, null, s11, v13, vcc_lo
	global_load_dword v12, v[12:13], off
	s_waitcnt vmcnt(0)
	v_subrev_nc_u32_e32 v12, s17, v12
	v_mul_lo_u32 v13, 0x89, v12
	v_and_b32_e32 v13, 0x3fff, v13
	s_inst_prefetch 0x1
	s_branch .LBB41_12
	.p2align	6
.LBB41_10:                              ;   in Loop: Header=BB41_12 Depth=3
	s_or_b32 exec_lo, exec_lo, s31
	s_andn2_b32 s21, s21, exec_lo
	s_and_b32 s31, s33, exec_lo
	s_or_b32 s21, s21, s31
.LBB41_11:                              ;   in Loop: Header=BB41_12 Depth=3
	s_or_b32 exec_lo, exec_lo, s29
	s_xor_b32 s29, s21, -1
	s_and_b32 s29, exec_lo, s29
	s_or_b32 s20, s29, s20
	s_andn2_b32 exec_lo, exec_lo, s20
	s_cbranch_execz .LBB41_8
.LBB41_12:                              ;   Parent Loop BB41_6 Depth=1
                                        ;     Parent Loop BB41_9 Depth=2
                                        ; =>    This Inner Loop Header: Depth=3
	v_lshl_add_u32 v14, v13, 2, 0
	s_andn2_b32 s21, s21, exec_lo
	s_mov_b32 s29, exec_lo
	ds_read_b32 v15, v14
	s_waitcnt lgkmcnt(0)
	v_cmpx_ne_u32_e64 v15, v12
	s_cbranch_execz .LBB41_11
; %bb.13:                               ;   in Loop: Header=BB41_12 Depth=3
	s_mov_b32 s31, exec_lo
	v_cmpx_ne_u32_e64 s30, v15
	s_xor_b32 s31, exec_lo, s31
; %bb.14:                               ;   in Loop: Header=BB41_12 Depth=3
	v_add_nc_u32_e32 v13, 1, v13
                                        ; implicit-def: $vgpr14
	v_and_b32_e32 v13, 0x3fff, v13
; %bb.15:                               ;   in Loop: Header=BB41_12 Depth=3
	s_or_saveexec_b32 s31, s31
	s_mov_b32 s33, -1
	s_xor_b32 exec_lo, exec_lo, s31
	s_cbranch_execz .LBB41_10
; %bb.16:                               ;   in Loop: Header=BB41_12 Depth=3
	v_mov_b32_e32 v15, s30
	ds_cmpst_rtn_b32 v14, v14, v15, v12
	s_waitcnt lgkmcnt(0)
	v_cmp_ne_u32_e32 vcc_lo, s30, v14
	s_orn2_b32 s33, vcc_lo, exec_lo
	s_branch .LBB41_10
.LBB41_17:
	s_or_b32 exec_lo, exec_lo, s3
.LBB41_18:
	s_bfe_u32 s0, s2, 0x10008
	s_cmp_eq_u32 s0, 0
	s_cbranch_scc1 .LBB41_21
; %bb.19:
	s_waitcnt lgkmcnt(0)
	s_ashr_i32 s29, s28, 31
	v_sub_co_u32 v1, s4, v0, s19
	s_lshl_b64 s[0:1], s[28:29], 3
	v_sub_co_ci_u32_e64 v2, null, 0, 0, s4
	s_add_u32 s0, s12, s0
	s_addc_u32 s1, s13, s1
	s_load_dwordx4 s[0:3], s[0:1], 0x0
	s_waitcnt lgkmcnt(0)
	v_add_co_u32 v1, vcc_lo, s0, v1
	v_add_co_ci_u32_e64 v2, null, s1, v2, vcc_lo
	s_sub_u32 s0, s2, s19
	s_subb_u32 s1, s3, 0
	s_mov_b32 s3, 0
	s_mov_b32 s2, exec_lo
	v_cmpx_gt_i64_e64 s[0:1], v[1:2]
	s_cbranch_execnz .LBB41_58
.LBB41_20:
	s_or_b32 exec_lo, exec_lo, s2
.LBB41_21:
	v_mbcnt_lo_u32_b32 v1, -1, 0
	v_lshlrev_b32_e32 v2, 2, v9
	s_add_i32 s36, 0, 0x1003c
	v_cmp_lt_u32_e64 s0, 63, v0
	v_cmp_lt_u32_e64 s1, 0x7f, v0
	v_xor_b32_e32 v3, 31, v1
	v_mov_b32_e32 v1, 0
	v_add3_u32 v2, 0x10000, 0, v2
	v_cmp_lt_u32_e64 s2, 0xbf, v0
	v_cmp_lt_u32_e64 s3, 0xff, v0
	v_lshrrev_b32_e64 v3, v3, -1
	v_cmp_lt_u32_e64 s4, 0x13f, v0
	v_cmp_lt_u32_e64 s5, 0x17f, v0
	;; [unrolled: 1-line block ×11, first 2 shown]
	v_mov_b32_e32 v4, s36
	s_waitcnt lgkmcnt(0)
	s_mov_b32 s16, 0
	s_add_i32 s17, 0, 0x10000
	s_add_i32 s19, 0, 0x10004
	;; [unrolled: 1-line block ×15, first 2 shown]
	s_barrier
	v_cmp_eq_u32_e32 vcc_lo, 0x3ff, v0
	buffer_gl0_inv
	s_branch .LBB41_23
.LBB41_22:                              ;   in Loop: Header=BB41_23 Depth=1
	s_or_b32 exec_lo, exec_lo, s15
	s_waitcnt lgkmcnt(0)
	s_barrier
	buffer_gl0_inv
	ds_read_b32 v5, v4
	v_add_nc_u32_e32 v8, 0x400, v8
	v_add_nc_u32_e32 v7, 0x1000, v7
	v_cmp_lt_u32_e64 s15, 0x3bff, v8
	s_or_b32 s16, s15, s16
	s_waitcnt lgkmcnt(0)
	v_add_nc_u32_e32 v1, v5, v1
	s_andn2_b32 exec_lo, exec_lo, s16
	s_cbranch_execz .LBB41_66
.LBB41_23:                              ; =>This Inner Loop Header: Depth=1
	ds_read_b32 v5, v7
	s_waitcnt lgkmcnt(0)
	s_barrier
	buffer_gl0_inv
	v_cmp_gt_i32_e64 s15, s30, v5
	v_and_b32_e32 v6, s15, v3
	s_bcnt1_i32_b32 s41, s15
	v_mov_b32_e32 v9, s41
	v_bcnt_u32_b32 v6, v6, 0
	ds_write_b32 v2, v9
	s_waitcnt lgkmcnt(0)
	s_barrier
	buffer_gl0_inv
	s_and_saveexec_b32 s41, s0
	s_cbranch_execnz .LBB41_40
; %bb.24:                               ;   in Loop: Header=BB41_23 Depth=1
	s_or_b32 exec_lo, exec_lo, s41
	s_and_saveexec_b32 s41, s1
	s_cbranch_execnz .LBB41_41
.LBB41_25:                              ;   in Loop: Header=BB41_23 Depth=1
	s_or_b32 exec_lo, exec_lo, s41
	s_and_saveexec_b32 s41, s2
	s_cbranch_execnz .LBB41_42
.LBB41_26:                              ;   in Loop: Header=BB41_23 Depth=1
	s_or_b32 exec_lo, exec_lo, s41
	s_and_saveexec_b32 s41, s3
	s_cbranch_execnz .LBB41_43
.LBB41_27:                              ;   in Loop: Header=BB41_23 Depth=1
	s_or_b32 exec_lo, exec_lo, s41
	s_and_saveexec_b32 s41, s4
	s_cbranch_execnz .LBB41_44
.LBB41_28:                              ;   in Loop: Header=BB41_23 Depth=1
	s_or_b32 exec_lo, exec_lo, s41
	s_and_saveexec_b32 s41, s5
	s_cbranch_execnz .LBB41_45
.LBB41_29:                              ;   in Loop: Header=BB41_23 Depth=1
	s_or_b32 exec_lo, exec_lo, s41
	s_and_saveexec_b32 s41, s6
	s_cbranch_execnz .LBB41_46
.LBB41_30:                              ;   in Loop: Header=BB41_23 Depth=1
	s_or_b32 exec_lo, exec_lo, s41
	s_and_saveexec_b32 s41, s7
	s_cbranch_execnz .LBB41_47
.LBB41_31:                              ;   in Loop: Header=BB41_23 Depth=1
	s_or_b32 exec_lo, exec_lo, s41
	s_and_saveexec_b32 s41, s8
	s_cbranch_execnz .LBB41_48
.LBB41_32:                              ;   in Loop: Header=BB41_23 Depth=1
	s_or_b32 exec_lo, exec_lo, s41
	s_and_saveexec_b32 s41, s9
	s_cbranch_execnz .LBB41_49
.LBB41_33:                              ;   in Loop: Header=BB41_23 Depth=1
	s_or_b32 exec_lo, exec_lo, s41
	s_and_saveexec_b32 s41, s10
	s_cbranch_execnz .LBB41_50
.LBB41_34:                              ;   in Loop: Header=BB41_23 Depth=1
	s_or_b32 exec_lo, exec_lo, s41
	s_and_saveexec_b32 s41, s11
	s_cbranch_execnz .LBB41_51
.LBB41_35:                              ;   in Loop: Header=BB41_23 Depth=1
	s_or_b32 exec_lo, exec_lo, s41
	s_and_saveexec_b32 s41, s12
	s_cbranch_execnz .LBB41_52
.LBB41_36:                              ;   in Loop: Header=BB41_23 Depth=1
	s_or_b32 exec_lo, exec_lo, s41
	s_and_saveexec_b32 s41, s13
	s_cbranch_execnz .LBB41_53
.LBB41_37:                              ;   in Loop: Header=BB41_23 Depth=1
	s_or_b32 exec_lo, exec_lo, s41
	s_and_saveexec_b32 s41, s14
	s_cbranch_execnz .LBB41_54
.LBB41_38:                              ;   in Loop: Header=BB41_23 Depth=1
	s_or_b32 exec_lo, exec_lo, s41
	s_and_saveexec_b32 s41, s15
	s_cbranch_execnz .LBB41_55
.LBB41_39:                              ;   in Loop: Header=BB41_23 Depth=1
	s_or_b32 exec_lo, exec_lo, s41
	s_and_saveexec_b32 s15, vcc_lo
	s_cbranch_execz .LBB41_22
	s_branch .LBB41_56
.LBB41_40:                              ;   in Loop: Header=BB41_23 Depth=1
	v_mov_b32_e32 v9, s17
	ds_read_b32 v9, v9
	s_waitcnt lgkmcnt(0)
	v_add_nc_u32_e32 v6, v9, v6
	s_or_b32 exec_lo, exec_lo, s41
	s_and_saveexec_b32 s41, s1
	s_cbranch_execz .LBB41_25
.LBB41_41:                              ;   in Loop: Header=BB41_23 Depth=1
	v_mov_b32_e32 v9, s19
	ds_read_b32 v9, v9
	s_waitcnt lgkmcnt(0)
	v_add_nc_u32_e32 v6, v9, v6
	s_or_b32 exec_lo, exec_lo, s41
	s_and_saveexec_b32 s41, s2
	s_cbranch_execz .LBB41_26
.LBB41_42:                              ;   in Loop: Header=BB41_23 Depth=1
	v_mov_b32_e32 v9, s20
	ds_read_b32 v9, v9
	s_waitcnt lgkmcnt(0)
	v_add_nc_u32_e32 v6, v9, v6
	s_or_b32 exec_lo, exec_lo, s41
	s_and_saveexec_b32 s41, s3
	s_cbranch_execz .LBB41_27
.LBB41_43:                              ;   in Loop: Header=BB41_23 Depth=1
	v_mov_b32_e32 v9, s21
	ds_read_b32 v9, v9
	s_waitcnt lgkmcnt(0)
	v_add_nc_u32_e32 v6, v9, v6
	s_or_b32 exec_lo, exec_lo, s41
	s_and_saveexec_b32 s41, s4
	s_cbranch_execz .LBB41_28
.LBB41_44:                              ;   in Loop: Header=BB41_23 Depth=1
	v_mov_b32_e32 v9, s22
	ds_read_b32 v9, v9
	s_waitcnt lgkmcnt(0)
	v_add_nc_u32_e32 v6, v9, v6
	s_or_b32 exec_lo, exec_lo, s41
	s_and_saveexec_b32 s41, s5
	s_cbranch_execz .LBB41_29
.LBB41_45:                              ;   in Loop: Header=BB41_23 Depth=1
	v_mov_b32_e32 v9, s23
	ds_read_b32 v9, v9
	s_waitcnt lgkmcnt(0)
	v_add_nc_u32_e32 v6, v9, v6
	s_or_b32 exec_lo, exec_lo, s41
	s_and_saveexec_b32 s41, s6
	s_cbranch_execz .LBB41_30
.LBB41_46:                              ;   in Loop: Header=BB41_23 Depth=1
	v_mov_b32_e32 v9, s29
	ds_read_b32 v9, v9
	s_waitcnt lgkmcnt(0)
	v_add_nc_u32_e32 v6, v9, v6
	s_or_b32 exec_lo, exec_lo, s41
	s_and_saveexec_b32 s41, s7
	s_cbranch_execz .LBB41_31
.LBB41_47:                              ;   in Loop: Header=BB41_23 Depth=1
	v_mov_b32_e32 v9, s31
	ds_read_b32 v9, v9
	s_waitcnt lgkmcnt(0)
	v_add_nc_u32_e32 v6, v9, v6
	s_or_b32 exec_lo, exec_lo, s41
	s_and_saveexec_b32 s41, s8
	s_cbranch_execz .LBB41_32
.LBB41_48:                              ;   in Loop: Header=BB41_23 Depth=1
	v_mov_b32_e32 v9, s33
	ds_read_b32 v9, v9
	s_waitcnt lgkmcnt(0)
	v_add_nc_u32_e32 v6, v9, v6
	s_or_b32 exec_lo, exec_lo, s41
	s_and_saveexec_b32 s41, s9
	s_cbranch_execz .LBB41_33
.LBB41_49:                              ;   in Loop: Header=BB41_23 Depth=1
	v_mov_b32_e32 v9, s34
	ds_read_b32 v9, v9
	s_waitcnt lgkmcnt(0)
	v_add_nc_u32_e32 v6, v9, v6
	s_or_b32 exec_lo, exec_lo, s41
	s_and_saveexec_b32 s41, s10
	s_cbranch_execz .LBB41_34
.LBB41_50:                              ;   in Loop: Header=BB41_23 Depth=1
	v_mov_b32_e32 v9, s35
	ds_read_b32 v9, v9
	s_waitcnt lgkmcnt(0)
	v_add_nc_u32_e32 v6, v9, v6
	s_or_b32 exec_lo, exec_lo, s41
	s_and_saveexec_b32 s41, s11
	s_cbranch_execz .LBB41_35
.LBB41_51:                              ;   in Loop: Header=BB41_23 Depth=1
	v_mov_b32_e32 v9, s37
	ds_read_b32 v9, v9
	s_waitcnt lgkmcnt(0)
	v_add_nc_u32_e32 v6, v9, v6
	s_or_b32 exec_lo, exec_lo, s41
	s_and_saveexec_b32 s41, s12
	s_cbranch_execz .LBB41_36
.LBB41_52:                              ;   in Loop: Header=BB41_23 Depth=1
	v_mov_b32_e32 v9, s38
	ds_read_b32 v9, v9
	s_waitcnt lgkmcnt(0)
	v_add_nc_u32_e32 v6, v9, v6
	s_or_b32 exec_lo, exec_lo, s41
	s_and_saveexec_b32 s41, s13
	s_cbranch_execz .LBB41_37
.LBB41_53:                              ;   in Loop: Header=BB41_23 Depth=1
	v_mov_b32_e32 v9, s39
	ds_read_b32 v9, v9
	s_waitcnt lgkmcnt(0)
	v_add_nc_u32_e32 v6, v9, v6
	s_or_b32 exec_lo, exec_lo, s41
	s_and_saveexec_b32 s41, s14
	s_cbranch_execz .LBB41_38
.LBB41_54:                              ;   in Loop: Header=BB41_23 Depth=1
	v_mov_b32_e32 v9, s40
	ds_read_b32 v9, v9
	s_waitcnt lgkmcnt(0)
	v_add_nc_u32_e32 v6, v9, v6
	s_or_b32 exec_lo, exec_lo, s41
	s_and_saveexec_b32 s41, s15
	s_cbranch_execz .LBB41_39
.LBB41_55:                              ;   in Loop: Header=BB41_23 Depth=1
	v_lshlrev_b32_e32 v9, 2, v1
	v_lshlrev_b32_e32 v10, 2, v6
	v_add_nc_u32_e32 v9, 0, v9
	v_add3_u32 v9, v9, v10, -4
	ds_write_b32 v9, v5
	s_or_b32 exec_lo, exec_lo, s41
	s_and_saveexec_b32 s15, vcc_lo
	s_cbranch_execz .LBB41_22
.LBB41_56:                              ;   in Loop: Header=BB41_23 Depth=1
	v_mov_b32_e32 v5, s36
	ds_write_b32 v5, v6
	s_branch .LBB41_22
.LBB41_57:                              ;   in Loop: Header=BB41_58 Depth=1
	s_inst_prefetch 0x2
	s_or_b32 exec_lo, exec_lo, s4
	v_add_co_u32 v1, vcc_lo, 0x400, v1
	v_add_co_ci_u32_e64 v2, null, 0, v2, vcc_lo
	v_cmp_le_i64_e32 vcc_lo, s[0:1], v[1:2]
	s_or_b32 s3, vcc_lo, s3
	s_andn2_b32 exec_lo, exec_lo, s3
	s_cbranch_execz .LBB41_20
.LBB41_58:                              ; =>This Loop Header: Depth=1
                                        ;     Child Loop BB41_61 Depth 2
	v_lshlrev_b64 v[3:4], 2, v[1:2]
	s_mov_b32 s4, 0
                                        ; implicit-def: $sgpr5
	v_add_co_u32 v3, vcc_lo, s14, v3
	v_add_co_ci_u32_e64 v4, null, s15, v4, vcc_lo
	global_load_dword v3, v[3:4], off
	s_waitcnt vmcnt(0)
	v_subrev_nc_u32_e32 v3, s19, v3
	v_mul_lo_u32 v4, 0x89, v3
	v_and_b32_e32 v4, 0x3fff, v4
	s_inst_prefetch 0x1
	s_branch .LBB41_61
	.p2align	6
.LBB41_59:                              ;   in Loop: Header=BB41_61 Depth=2
	s_or_b32 exec_lo, exec_lo, s7
	s_andn2_b32 s5, s5, exec_lo
	s_and_b32 s7, s8, exec_lo
	s_or_b32 s5, s5, s7
.LBB41_60:                              ;   in Loop: Header=BB41_61 Depth=2
	s_or_b32 exec_lo, exec_lo, s6
	s_xor_b32 s6, s5, -1
	s_and_b32 s6, exec_lo, s6
	s_or_b32 s4, s6, s4
	s_andn2_b32 exec_lo, exec_lo, s4
	s_cbranch_execz .LBB41_57
.LBB41_61:                              ;   Parent Loop BB41_58 Depth=1
                                        ; =>  This Inner Loop Header: Depth=2
	v_lshl_add_u32 v5, v4, 2, 0
	s_andn2_b32 s5, s5, exec_lo
	s_mov_b32 s6, exec_lo
	ds_read_b32 v6, v5
	s_waitcnt lgkmcnt(0)
	v_cmpx_ne_u32_e64 v6, v3
	s_cbranch_execz .LBB41_60
; %bb.62:                               ;   in Loop: Header=BB41_61 Depth=2
	s_mov_b32 s7, exec_lo
	v_cmpx_ne_u32_e64 s30, v6
	s_xor_b32 s7, exec_lo, s7
; %bb.63:                               ;   in Loop: Header=BB41_61 Depth=2
	v_add_nc_u32_e32 v4, 1, v4
                                        ; implicit-def: $vgpr5
	v_and_b32_e32 v4, 0x3fff, v4
; %bb.64:                               ;   in Loop: Header=BB41_61 Depth=2
	s_or_saveexec_b32 s7, s7
	s_mov_b32 s8, -1
	s_xor_b32 exec_lo, exec_lo, s7
	s_cbranch_execz .LBB41_59
; %bb.65:                               ;   in Loop: Header=BB41_61 Depth=2
	v_mov_b32_e32 v6, s30
	ds_cmpst_rtn_b32 v5, v5, v6, v3
	s_waitcnt lgkmcnt(0)
	v_cmp_ne_u32_e32 vcc_lo, s30, v5
	s_orn2_b32 s8, vcc_lo, exec_lo
	s_branch .LBB41_59
.LBB41_66:
	s_or_b32 exec_lo, exec_lo, s16
	s_ashr_i32 s29, s28, 31
	s_mov_b32 s4, exec_lo
	s_lshl_b64 s[0:1], s[28:29], 3
	s_add_u32 s0, s24, s0
	s_addc_u32 s1, s25, s1
	s_load_dwordx4 s[0:3], s[0:1], 0x0
	s_waitcnt lgkmcnt(0)
	s_sub_i32 s3, s2, s0
	v_cmpx_gt_i32_e64 s3, v0
	s_cbranch_execz .LBB41_76
; %bb.67:
	s_sub_u32 s4, s0, s18
	s_subb_u32 s5, s1, 0
	s_sub_i32 s0, s0, s2
	s_and_b32 s1, s3, 7
	s_cmp_lt_u32 s0, -7
	s_mov_b32 s8, 0
	s_cselect_b32 s2, -1, 0
	s_and_b32 s6, s3, -8
	s_cmp_lg_u32 s1, 0
	s_cselect_b32 s7, -1, 0
	s_branch .LBB41_69
.LBB41_68:                              ;   in Loop: Header=BB41_69 Depth=1
	v_lshlrev_b64 v[1:2], 2, v[1:2]
	v_add_nc_u32_e32 v0, 0x400, v0
	s_waitcnt lgkmcnt(0)
	v_add_nc_u32_e32 v3, s18, v3
	v_cmp_le_i32_e32 vcc_lo, s3, v0
	v_add_co_u32 v1, s0, s26, v1
	v_add_co_ci_u32_e64 v2, null, s27, v2, s0
	s_or_b32 s8, vcc_lo, s8
	global_store_dword v[1:2], v3, off
	s_andn2_b32 exec_lo, exec_lo, s8
	s_cbranch_execz .LBB41_76
.LBB41_69:                              ; =>This Loop Header: Depth=1
                                        ;     Child Loop BB41_71 Depth 2
                                        ;     Child Loop BB41_75 Depth 2
	v_lshl_add_u32 v1, v0, 2, 0
	s_andn2_b32 vcc_lo, exec_lo, s2
	s_mov_b32 s0, 0
	ds_read_b32 v3, v1
	v_mov_b32_e32 v1, s4
	v_mov_b32_e32 v2, s5
	s_cbranch_vccnz .LBB41_73
; %bb.70:                               ;   in Loop: Header=BB41_69 Depth=1
	v_mov_b32_e32 v1, s4
	v_mov_b32_e32 v2, s5
	s_mov_b32 s9, 0
	s_mov_b32 s10, 0
.LBB41_71:                              ;   Parent Loop BB41_69 Depth=1
                                        ; =>  This Inner Loop Header: Depth=2
	v_mov_b32_e32 v10, s10
	s_add_i32 s9, s9, 8
	s_add_i32 s10, s10, 32
	s_cmp_eq_u32 s6, s9
	ds_read2_b32 v[4:5], v10 offset1:1
	ds_read2_b32 v[6:7], v10 offset0:2 offset1:3
	ds_read2_b32 v[8:9], v10 offset0:4 offset1:5
	;; [unrolled: 1-line block ×3, first 2 shown]
	s_waitcnt lgkmcnt(3)
	v_cmp_gt_i32_e32 vcc_lo, v3, v4
	v_cndmask_b32_e64 v4, 0, 1, vcc_lo
	v_cmp_gt_i32_e32 vcc_lo, v3, v5
	v_cndmask_b32_e64 v5, 0, 1, vcc_lo
	s_waitcnt lgkmcnt(2)
	v_cmp_gt_i32_e32 vcc_lo, v3, v6
	v_cndmask_b32_e64 v6, 0, 1, vcc_lo
	v_cmp_gt_i32_e32 vcc_lo, v3, v7
	v_cndmask_b32_e64 v7, 0, 1, vcc_lo
	s_waitcnt lgkmcnt(1)
	v_cmp_gt_i32_e32 vcc_lo, v3, v8
	v_cndmask_b32_e64 v8, 0, 1, vcc_lo
	v_add_co_u32 v1, vcc_lo, v1, v4
	v_add_co_ci_u32_e64 v2, null, 0, v2, vcc_lo
	v_cmp_gt_i32_e32 vcc_lo, v3, v9
	v_add_co_u32 v1, s0, v1, v5
	v_add_co_ci_u32_e64 v2, null, 0, v2, s0
	v_cndmask_b32_e64 v4, 0, 1, vcc_lo
	v_add_co_u32 v1, vcc_lo, v1, v6
	v_add_co_ci_u32_e64 v2, null, 0, v2, vcc_lo
	s_waitcnt lgkmcnt(0)
	v_cmp_gt_i32_e32 vcc_lo, v3, v10
	v_add_co_u32 v1, s0, v1, v7
	v_add_co_ci_u32_e64 v2, null, 0, v2, s0
	v_cndmask_b32_e64 v5, 0, 1, vcc_lo
	v_add_co_u32 v1, vcc_lo, v1, v8
	v_add_co_ci_u32_e64 v2, null, 0, v2, vcc_lo
	v_cmp_gt_i32_e32 vcc_lo, v3, v11
	v_add_co_u32 v1, s0, v1, v4
	v_add_co_ci_u32_e64 v2, null, 0, v2, s0
	v_cndmask_b32_e64 v4, 0, 1, vcc_lo
	v_add_co_u32 v1, vcc_lo, v1, v5
	v_add_co_ci_u32_e64 v2, null, 0, v2, vcc_lo
	v_add_co_u32 v1, vcc_lo, v1, v4
	v_add_co_ci_u32_e64 v2, null, 0, v2, vcc_lo
	s_cbranch_scc0 .LBB41_71
; %bb.72:                               ;   in Loop: Header=BB41_69 Depth=1
	s_mov_b32 s0, s6
.LBB41_73:                              ;   in Loop: Header=BB41_69 Depth=1
	s_andn2_b32 vcc_lo, exec_lo, s7
	s_cbranch_vccnz .LBB41_68
; %bb.74:                               ;   in Loop: Header=BB41_69 Depth=1
	s_lshl_b32 s0, s0, 2
	s_mov_b32 s9, s1
	s_add_i32 s0, s0, 0
.LBB41_75:                              ;   Parent Loop BB41_69 Depth=1
                                        ; =>  This Inner Loop Header: Depth=2
	v_mov_b32_e32 v4, s0
	s_add_i32 s9, s9, -1
	s_add_i32 s0, s0, 4
	s_cmp_lg_u32 s9, 0
	ds_read_b32 v4, v4
	s_waitcnt lgkmcnt(0)
	v_cmp_gt_i32_e32 vcc_lo, v3, v4
	v_cndmask_b32_e64 v4, 0, 1, vcc_lo
	v_add_co_u32 v1, vcc_lo, v1, v4
	v_add_co_ci_u32_e64 v2, null, 0, v2, vcc_lo
	s_cbranch_scc1 .LBB41_75
	s_branch .LBB41_68
.LBB41_76:
	s_endpgm
	.section	.rodata,"a",@progbits
	.p2align	6, 0x0
	.amdhsa_kernel _ZN9rocsparseL35csrgemm_symbolic_fill_block_per_rowILj1024ELj64ELj16384ELj137ELj64EliEEvT5_PKS1_S3_PKT4_S3_S6_S3_S6_S3_S6_PS1_21rocsparse_index_base_S8_S8_S8_bb
		.amdhsa_group_segment_fixed_size 0
		.amdhsa_private_segment_fixed_size 0
		.amdhsa_kernarg_size 108
		.amdhsa_user_sgpr_count 6
		.amdhsa_user_sgpr_private_segment_buffer 1
		.amdhsa_user_sgpr_dispatch_ptr 0
		.amdhsa_user_sgpr_queue_ptr 0
		.amdhsa_user_sgpr_kernarg_segment_ptr 1
		.amdhsa_user_sgpr_dispatch_id 0
		.amdhsa_user_sgpr_flat_scratch_init 0
		.amdhsa_user_sgpr_private_segment_size 0
		.amdhsa_wavefront_size32 1
		.amdhsa_uses_dynamic_stack 0
		.amdhsa_system_sgpr_private_segment_wavefront_offset 0
		.amdhsa_system_sgpr_workgroup_id_x 1
		.amdhsa_system_sgpr_workgroup_id_y 0
		.amdhsa_system_sgpr_workgroup_id_z 0
		.amdhsa_system_sgpr_workgroup_info 0
		.amdhsa_system_vgpr_workitem_id 0
		.amdhsa_next_free_vgpr 16
		.amdhsa_next_free_sgpr 42
		.amdhsa_reserve_vcc 1
		.amdhsa_reserve_flat_scratch 0
		.amdhsa_float_round_mode_32 0
		.amdhsa_float_round_mode_16_64 0
		.amdhsa_float_denorm_mode_32 3
		.amdhsa_float_denorm_mode_16_64 3
		.amdhsa_dx10_clamp 1
		.amdhsa_ieee_mode 1
		.amdhsa_fp16_overflow 0
		.amdhsa_workgroup_processor_mode 1
		.amdhsa_memory_ordered 1
		.amdhsa_forward_progress 1
		.amdhsa_shared_vgpr_count 0
		.amdhsa_exception_fp_ieee_invalid_op 0
		.amdhsa_exception_fp_denorm_src 0
		.amdhsa_exception_fp_ieee_div_zero 0
		.amdhsa_exception_fp_ieee_overflow 0
		.amdhsa_exception_fp_ieee_underflow 0
		.amdhsa_exception_fp_ieee_inexact 0
		.amdhsa_exception_int_div_zero 0
	.end_amdhsa_kernel
	.section	.text._ZN9rocsparseL35csrgemm_symbolic_fill_block_per_rowILj1024ELj64ELj16384ELj137ELj64EliEEvT5_PKS1_S3_PKT4_S3_S6_S3_S6_S3_S6_PS1_21rocsparse_index_base_S8_S8_S8_bb,"axG",@progbits,_ZN9rocsparseL35csrgemm_symbolic_fill_block_per_rowILj1024ELj64ELj16384ELj137ELj64EliEEvT5_PKS1_S3_PKT4_S3_S6_S3_S6_S3_S6_PS1_21rocsparse_index_base_S8_S8_S8_bb,comdat
.Lfunc_end41:
	.size	_ZN9rocsparseL35csrgemm_symbolic_fill_block_per_rowILj1024ELj64ELj16384ELj137ELj64EliEEvT5_PKS1_S3_PKT4_S3_S6_S3_S6_S3_S6_PS1_21rocsparse_index_base_S8_S8_S8_bb, .Lfunc_end41-_ZN9rocsparseL35csrgemm_symbolic_fill_block_per_rowILj1024ELj64ELj16384ELj137ELj64EliEEvT5_PKS1_S3_PKT4_S3_S6_S3_S6_S3_S6_PS1_21rocsparse_index_base_S8_S8_S8_bb
                                        ; -- End function
	.set _ZN9rocsparseL35csrgemm_symbolic_fill_block_per_rowILj1024ELj64ELj16384ELj137ELj64EliEEvT5_PKS1_S3_PKT4_S3_S6_S3_S6_S3_S6_PS1_21rocsparse_index_base_S8_S8_S8_bb.num_vgpr, 16
	.set _ZN9rocsparseL35csrgemm_symbolic_fill_block_per_rowILj1024ELj64ELj16384ELj137ELj64EliEEvT5_PKS1_S3_PKT4_S3_S6_S3_S6_S3_S6_PS1_21rocsparse_index_base_S8_S8_S8_bb.num_agpr, 0
	.set _ZN9rocsparseL35csrgemm_symbolic_fill_block_per_rowILj1024ELj64ELj16384ELj137ELj64EliEEvT5_PKS1_S3_PKT4_S3_S6_S3_S6_S3_S6_PS1_21rocsparse_index_base_S8_S8_S8_bb.numbered_sgpr, 42
	.set _ZN9rocsparseL35csrgemm_symbolic_fill_block_per_rowILj1024ELj64ELj16384ELj137ELj64EliEEvT5_PKS1_S3_PKT4_S3_S6_S3_S6_S3_S6_PS1_21rocsparse_index_base_S8_S8_S8_bb.num_named_barrier, 0
	.set _ZN9rocsparseL35csrgemm_symbolic_fill_block_per_rowILj1024ELj64ELj16384ELj137ELj64EliEEvT5_PKS1_S3_PKT4_S3_S6_S3_S6_S3_S6_PS1_21rocsparse_index_base_S8_S8_S8_bb.private_seg_size, 0
	.set _ZN9rocsparseL35csrgemm_symbolic_fill_block_per_rowILj1024ELj64ELj16384ELj137ELj64EliEEvT5_PKS1_S3_PKT4_S3_S6_S3_S6_S3_S6_PS1_21rocsparse_index_base_S8_S8_S8_bb.uses_vcc, 1
	.set _ZN9rocsparseL35csrgemm_symbolic_fill_block_per_rowILj1024ELj64ELj16384ELj137ELj64EliEEvT5_PKS1_S3_PKT4_S3_S6_S3_S6_S3_S6_PS1_21rocsparse_index_base_S8_S8_S8_bb.uses_flat_scratch, 0
	.set _ZN9rocsparseL35csrgemm_symbolic_fill_block_per_rowILj1024ELj64ELj16384ELj137ELj64EliEEvT5_PKS1_S3_PKT4_S3_S6_S3_S6_S3_S6_PS1_21rocsparse_index_base_S8_S8_S8_bb.has_dyn_sized_stack, 0
	.set _ZN9rocsparseL35csrgemm_symbolic_fill_block_per_rowILj1024ELj64ELj16384ELj137ELj64EliEEvT5_PKS1_S3_PKT4_S3_S6_S3_S6_S3_S6_PS1_21rocsparse_index_base_S8_S8_S8_bb.has_recursion, 0
	.set _ZN9rocsparseL35csrgemm_symbolic_fill_block_per_rowILj1024ELj64ELj16384ELj137ELj64EliEEvT5_PKS1_S3_PKT4_S3_S6_S3_S6_S3_S6_PS1_21rocsparse_index_base_S8_S8_S8_bb.has_indirect_call, 0
	.section	.AMDGPU.csdata,"",@progbits
; Kernel info:
; codeLenInByte = 3052
; TotalNumSgprs: 44
; NumVgprs: 16
; ScratchSize: 0
; MemoryBound: 0
; FloatMode: 240
; IeeeMode: 1
; LDSByteSize: 0 bytes/workgroup (compile time only)
; SGPRBlocks: 0
; VGPRBlocks: 1
; NumSGPRsForWavesPerEU: 44
; NumVGPRsForWavesPerEU: 16
; Occupancy: 16
; WaveLimiterHint : 1
; COMPUTE_PGM_RSRC2:SCRATCH_EN: 0
; COMPUTE_PGM_RSRC2:USER_SGPR: 6
; COMPUTE_PGM_RSRC2:TRAP_HANDLER: 0
; COMPUTE_PGM_RSRC2:TGID_X_EN: 1
; COMPUTE_PGM_RSRC2:TGID_Y_EN: 0
; COMPUTE_PGM_RSRC2:TGID_Z_EN: 0
; COMPUTE_PGM_RSRC2:TIDIG_COMP_CNT: 0
	.section	.text._ZN9rocsparseL35csrgemm_symbolic_fill_block_per_rowILj1024ELj64ELj32768ELj137ELj32EliEEvT5_PKS1_S3_PKT4_S3_S6_S3_S6_S3_S6_PS1_21rocsparse_index_base_S8_S8_S8_bb,"axG",@progbits,_ZN9rocsparseL35csrgemm_symbolic_fill_block_per_rowILj1024ELj64ELj32768ELj137ELj32EliEEvT5_PKS1_S3_PKT4_S3_S6_S3_S6_S3_S6_PS1_21rocsparse_index_base_S8_S8_S8_bb,comdat
	.globl	_ZN9rocsparseL35csrgemm_symbolic_fill_block_per_rowILj1024ELj64ELj32768ELj137ELj32EliEEvT5_PKS1_S3_PKT4_S3_S6_S3_S6_S3_S6_PS1_21rocsparse_index_base_S8_S8_S8_bb ; -- Begin function _ZN9rocsparseL35csrgemm_symbolic_fill_block_per_rowILj1024ELj64ELj32768ELj137ELj32EliEEvT5_PKS1_S3_PKT4_S3_S6_S3_S6_S3_S6_PS1_21rocsparse_index_base_S8_S8_S8_bb
	.p2align	8
	.type	_ZN9rocsparseL35csrgemm_symbolic_fill_block_per_rowILj1024ELj64ELj32768ELj137ELj32EliEEvT5_PKS1_S3_PKT4_S3_S6_S3_S6_S3_S6_PS1_21rocsparse_index_base_S8_S8_S8_bb,@function
_ZN9rocsparseL35csrgemm_symbolic_fill_block_per_rowILj1024ELj64ELj32768ELj137ELj32EliEEvT5_PKS1_S3_PKT4_S3_S6_S3_S6_S3_S6_PS1_21rocsparse_index_base_S8_S8_S8_bb: ; @_ZN9rocsparseL35csrgemm_symbolic_fill_block_per_rowILj1024ELj64ELj32768ELj137ELj32EliEEvT5_PKS1_S3_PKT4_S3_S6_S3_S6_S3_S6_PS1_21rocsparse_index_base_S8_S8_S8_bb
; %bb.0:
	s_clause 0x3
	s_load_dword s33, s[4:5], 0x0
	s_load_dwordx4 s[36:39], s[4:5], 0x48
	s_load_dwordx8 s[8:15], s[4:5], 0x28
	s_load_dwordx8 s[16:23], s[4:5], 0x8
	v_lshl_add_u32 v7, v0, 2, 0
	v_or_b32_e32 v8, 0xfffffc00, v0
	s_mov_b32 s0, 0
	v_mov_b32_e32 v1, v7
	v_mov_b32_e32 v3, v8
	s_waitcnt lgkmcnt(0)
	v_mov_b32_e32 v2, s33
.LBB42_1:                               ; =>This Inner Loop Header: Depth=1
	v_add_nc_u32_e32 v3, 0x400, v3
	ds_write_b32 v1, v2
	v_add_nc_u32_e32 v1, 0x1000, v1
	v_cmp_lt_u32_e32 vcc_lo, 0x7bff, v3
	s_or_b32 s0, vcc_lo, s0
	s_andn2_b32 exec_lo, exec_lo, s0
	s_cbranch_execnz .LBB42_1
; %bb.2:
	s_or_b32 exec_lo, exec_lo, s0
	s_load_dword s2, s[4:5], 0x68
	s_waitcnt lgkmcnt(0)
	s_barrier
	buffer_gl0_inv
	s_load_dword s0, s[16:17], 0x0
	s_mov_b32 s1, 0
	s_bitcmp1_b32 s2, 0
	s_cselect_b32 s3, -1, 0
	s_waitcnt lgkmcnt(0)
	s_add_i32 s0, s0, s6
	s_lshl_b64 s[0:1], s[0:1], 2
	s_add_u32 s0, s18, s0
	s_addc_u32 s1, s19, s1
	s_load_dwordx4 s[40:43], s[4:5], 0x58
	s_load_dword s34, s[0:1], 0x0
	s_and_b32 vcc_lo, exec_lo, s3
	s_cbranch_vccz .LBB42_18
; %bb.3:
	s_waitcnt lgkmcnt(0)
	s_ashr_i32 s35, s34, 31
	v_lshrrev_b32_e32 v1, 6, v0
	s_lshl_b64 s[0:1], s[34:35], 3
	s_mov_b32 s3, exec_lo
	s_add_u32 s0, s20, s0
	s_addc_u32 s1, s21, s1
	s_load_dwordx4 s[4:7], s[0:1], 0x0
	v_sub_co_u32 v1, s0, v1, s40
	v_sub_co_ci_u32_e64 v2, null, 0, 0, s0
	s_waitcnt lgkmcnt(0)
	v_add_co_u32 v1, vcc_lo, s4, v1
	v_add_co_ci_u32_e64 v2, null, s5, v2, vcc_lo
	s_sub_u32 s0, s6, s40
	s_subb_u32 s1, s7, 0
	v_cmpx_gt_i64_e64 s[0:1], v[1:2]
	s_cbranch_execz .LBB42_17
; %bb.4:
	v_and_b32_e32 v3, 63, v0
	s_mov_b32 s5, s41
	v_sub_co_u32 v9, s4, v3, s41
	v_sub_co_ci_u32_e64 v10, null, 0, 0, s4
	s_mov_b32 s4, 0
	s_branch .LBB42_6
.LBB42_5:                               ;   in Loop: Header=BB42_6 Depth=1
	s_or_b32 exec_lo, exec_lo, s6
	v_add_co_u32 v1, vcc_lo, v1, 16
	v_add_co_ci_u32_e64 v2, null, 0, v2, vcc_lo
	v_cmp_le_i64_e32 vcc_lo, s[0:1], v[1:2]
	s_or_b32 s4, vcc_lo, s4
	s_andn2_b32 exec_lo, exec_lo, s4
	s_cbranch_execz .LBB42_17
.LBB42_6:                               ; =>This Loop Header: Depth=1
                                        ;     Child Loop BB42_9 Depth 2
                                        ;       Child Loop BB42_12 Depth 3
	v_lshlrev_b64 v[3:4], 2, v[1:2]
	s_mov_b32 s6, exec_lo
	v_add_co_u32 v3, vcc_lo, s22, v3
	v_add_co_ci_u32_e64 v4, null, s23, v4, vcc_lo
	global_load_dword v3, v[3:4], off
	s_waitcnt vmcnt(0)
	v_subrev_nc_u32_e32 v3, s40, v3
	v_ashrrev_i32_e32 v4, 31, v3
	v_lshlrev_b64 v[3:4], 3, v[3:4]
	v_add_co_u32 v3, vcc_lo, s8, v3
	v_add_co_ci_u32_e64 v4, null, s9, v4, vcc_lo
	global_load_dwordx4 v[11:14], v[3:4], off
	s_waitcnt vmcnt(0)
	v_sub_co_u32 v3, vcc_lo, v13, s5
	v_subrev_co_ci_u32_e64 v4, null, 0, v14, vcc_lo
	v_add_co_u32 v5, vcc_lo, v11, v9
	v_add_co_ci_u32_e64 v6, null, v12, v10, vcc_lo
	v_cmpx_lt_i64_e64 v[5:6], v[3:4]
	s_cbranch_execz .LBB42_5
; %bb.7:                                ;   in Loop: Header=BB42_6 Depth=1
	s_mov_b32 s7, 0
	s_branch .LBB42_9
.LBB42_8:                               ;   in Loop: Header=BB42_9 Depth=2
	s_inst_prefetch 0x2
	s_or_b32 exec_lo, exec_lo, s16
	v_add_co_u32 v5, vcc_lo, v5, 64
	v_add_co_ci_u32_e64 v6, null, 0, v6, vcc_lo
	v_cmp_ge_i64_e32 vcc_lo, v[5:6], v[3:4]
	s_or_b32 s7, vcc_lo, s7
	s_andn2_b32 exec_lo, exec_lo, s7
	s_cbranch_execz .LBB42_5
.LBB42_9:                               ;   Parent Loop BB42_6 Depth=1
                                        ; =>  This Loop Header: Depth=2
                                        ;       Child Loop BB42_12 Depth 3
	v_lshlrev_b64 v[11:12], 2, v[5:6]
	s_mov_b32 s16, 0
                                        ; implicit-def: $sgpr17
	v_add_co_u32 v11, vcc_lo, s10, v11
	v_add_co_ci_u32_e64 v12, null, s11, v12, vcc_lo
	global_load_dword v11, v[11:12], off
	s_waitcnt vmcnt(0)
	v_subrev_nc_u32_e32 v11, s41, v11
	v_mul_lo_u32 v12, 0x89, v11
	v_and_b32_e32 v12, 0x7fff, v12
	s_inst_prefetch 0x1
	s_branch .LBB42_12
	.p2align	6
.LBB42_10:                              ;   in Loop: Header=BB42_12 Depth=3
	s_or_b32 exec_lo, exec_lo, s19
	s_andn2_b32 s17, s17, exec_lo
	s_and_b32 s19, s20, exec_lo
	s_or_b32 s17, s17, s19
.LBB42_11:                              ;   in Loop: Header=BB42_12 Depth=3
	s_or_b32 exec_lo, exec_lo, s18
	s_xor_b32 s18, s17, -1
	s_and_b32 s18, exec_lo, s18
	s_or_b32 s16, s18, s16
	s_andn2_b32 exec_lo, exec_lo, s16
	s_cbranch_execz .LBB42_8
.LBB42_12:                              ;   Parent Loop BB42_6 Depth=1
                                        ;     Parent Loop BB42_9 Depth=2
                                        ; =>    This Inner Loop Header: Depth=3
	v_lshl_add_u32 v13, v12, 2, 0
	s_andn2_b32 s17, s17, exec_lo
	s_mov_b32 s18, exec_lo
	ds_read_b32 v14, v13
	s_waitcnt lgkmcnt(0)
	v_cmpx_ne_u32_e64 v14, v11
	s_cbranch_execz .LBB42_11
; %bb.13:                               ;   in Loop: Header=BB42_12 Depth=3
	s_mov_b32 s19, exec_lo
	v_cmpx_ne_u32_e64 s33, v14
	s_xor_b32 s19, exec_lo, s19
; %bb.14:                               ;   in Loop: Header=BB42_12 Depth=3
	v_add_nc_u32_e32 v12, 1, v12
                                        ; implicit-def: $vgpr13
	v_and_b32_e32 v12, 0x7fff, v12
; %bb.15:                               ;   in Loop: Header=BB42_12 Depth=3
	s_or_saveexec_b32 s19, s19
	s_mov_b32 s20, -1
	s_xor_b32 exec_lo, exec_lo, s19
	s_cbranch_execz .LBB42_10
; %bb.16:                               ;   in Loop: Header=BB42_12 Depth=3
	v_mov_b32_e32 v14, s33
	ds_cmpst_rtn_b32 v13, v13, v14, v11
	s_waitcnt lgkmcnt(0)
	v_cmp_ne_u32_e32 vcc_lo, s33, v13
	s_orn2_b32 s20, vcc_lo, exec_lo
	s_branch .LBB42_10
.LBB42_17:
	s_or_b32 exec_lo, exec_lo, s3
.LBB42_18:
	s_bfe_u32 s0, s2, 0x10008
	s_cmp_eq_u32 s0, 0
	s_cbranch_scc1 .LBB42_21
; %bb.19:
	s_waitcnt lgkmcnt(0)
	s_ashr_i32 s35, s34, 31
	v_sub_co_u32 v1, s4, v0, s43
	s_lshl_b64 s[0:1], s[34:35], 3
	v_sub_co_ci_u32_e64 v2, null, 0, 0, s4
	s_add_u32 s0, s12, s0
	s_addc_u32 s1, s13, s1
	s_load_dwordx4 s[0:3], s[0:1], 0x0
	s_waitcnt lgkmcnt(0)
	v_add_co_u32 v1, vcc_lo, s0, v1
	v_add_co_ci_u32_e64 v2, null, s1, v2, vcc_lo
	s_sub_u32 s0, s2, s43
	s_subb_u32 s1, s3, 0
	s_mov_b32 s3, 0
	s_mov_b32 s2, exec_lo
	v_cmpx_gt_i64_e64 s[0:1], v[1:2]
	s_cbranch_execnz .LBB42_90
.LBB42_20:
	s_or_b32 exec_lo, exec_lo, s2
.LBB42_21:
	v_mbcnt_lo_u32_b32 v1, -1, 0
	v_lshrrev_b32_e32 v2, 3, v0
	v_cmp_lt_u32_e64 s0, 31, v0
	v_cmp_lt_u32_e64 s1, 63, v0
	;; [unrolled: 1-line block ×3, first 2 shown]
	v_xor_b32_e32 v3, 31, v1
	v_and_b32_e32 v4, 0x7c, v2
	v_mov_b32_e32 v1, 0
	v_cmp_lt_u32_e64 s3, 0x7f, v0
	v_cmp_lt_u32_e64 s4, 0x9f, v0
	v_lshrrev_b32_e64 v2, v3, -1
	v_add3_u32 v3, 0x20000, 0, v4
	v_cmp_lt_u32_e64 s5, 0xbf, v0
	v_cmp_lt_u32_e64 s6, 0xdf, v0
	;; [unrolled: 1-line block ×26, first 2 shown]
	s_mov_b32 s35, 0
	s_waitcnt lgkmcnt(0)
	s_add_i32 s40, 0, 0x20000
	s_add_i32 s41, 0, 0x20004
	;; [unrolled: 1-line block ×32, first 2 shown]
	s_barrier
	v_cmp_eq_u32_e32 vcc_lo, 0x3ff, v0
	buffer_gl0_inv
	s_branch .LBB42_23
.LBB42_22:                              ;   in Loop: Header=BB42_23 Depth=1
	s_or_b32 exec_lo, exec_lo, s31
	v_mov_b32_e32 v4, s72
	s_waitcnt lgkmcnt(0)
	s_barrier
	buffer_gl0_inv
	v_add_nc_u32_e32 v8, 0x400, v8
	ds_read_b32 v4, v4
	v_add_nc_u32_e32 v7, 0x1000, v7
	v_cmp_lt_u32_e64 s31, 0x7bff, v8
	s_or_b32 s35, s31, s35
	s_waitcnt lgkmcnt(0)
	v_add_nc_u32_e32 v1, v4, v1
	s_andn2_b32 exec_lo, exec_lo, s35
	s_cbranch_execz .LBB42_98
.LBB42_23:                              ; =>This Inner Loop Header: Depth=1
	ds_read_b32 v4, v7
	s_waitcnt lgkmcnt(0)
	s_barrier
	buffer_gl0_inv
	v_cmp_gt_i32_e64 s31, s33, v4
	v_and_b32_e32 v5, s31, v2
	s_bcnt1_i32_b32 s73, s31
	v_mov_b32_e32 v6, s73
	v_bcnt_u32_b32 v5, v5, 0
	ds_write_b32 v3, v6
	s_waitcnt lgkmcnt(0)
	s_barrier
	buffer_gl0_inv
	s_and_saveexec_b32 s73, s0
	s_cbranch_execnz .LBB42_56
; %bb.24:                               ;   in Loop: Header=BB42_23 Depth=1
	s_or_b32 exec_lo, exec_lo, s73
	s_and_saveexec_b32 s73, s1
	s_cbranch_execnz .LBB42_57
.LBB42_25:                              ;   in Loop: Header=BB42_23 Depth=1
	s_or_b32 exec_lo, exec_lo, s73
	s_and_saveexec_b32 s73, s2
	s_cbranch_execnz .LBB42_58
.LBB42_26:                              ;   in Loop: Header=BB42_23 Depth=1
	s_or_b32 exec_lo, exec_lo, s73
	s_and_saveexec_b32 s73, s3
	s_cbranch_execnz .LBB42_59
.LBB42_27:                              ;   in Loop: Header=BB42_23 Depth=1
	s_or_b32 exec_lo, exec_lo, s73
	s_and_saveexec_b32 s73, s4
	s_cbranch_execnz .LBB42_60
.LBB42_28:                              ;   in Loop: Header=BB42_23 Depth=1
	s_or_b32 exec_lo, exec_lo, s73
	s_and_saveexec_b32 s73, s5
	s_cbranch_execnz .LBB42_61
.LBB42_29:                              ;   in Loop: Header=BB42_23 Depth=1
	s_or_b32 exec_lo, exec_lo, s73
	s_and_saveexec_b32 s73, s6
	s_cbranch_execnz .LBB42_62
.LBB42_30:                              ;   in Loop: Header=BB42_23 Depth=1
	s_or_b32 exec_lo, exec_lo, s73
	s_and_saveexec_b32 s73, s7
	s_cbranch_execnz .LBB42_63
.LBB42_31:                              ;   in Loop: Header=BB42_23 Depth=1
	s_or_b32 exec_lo, exec_lo, s73
	s_and_saveexec_b32 s73, s8
	s_cbranch_execnz .LBB42_64
.LBB42_32:                              ;   in Loop: Header=BB42_23 Depth=1
	s_or_b32 exec_lo, exec_lo, s73
	s_and_saveexec_b32 s73, s9
	s_cbranch_execnz .LBB42_65
.LBB42_33:                              ;   in Loop: Header=BB42_23 Depth=1
	s_or_b32 exec_lo, exec_lo, s73
	s_and_saveexec_b32 s73, s10
	s_cbranch_execnz .LBB42_66
.LBB42_34:                              ;   in Loop: Header=BB42_23 Depth=1
	s_or_b32 exec_lo, exec_lo, s73
	s_and_saveexec_b32 s73, s11
	s_cbranch_execnz .LBB42_67
.LBB42_35:                              ;   in Loop: Header=BB42_23 Depth=1
	s_or_b32 exec_lo, exec_lo, s73
	s_and_saveexec_b32 s73, s12
	s_cbranch_execnz .LBB42_68
.LBB42_36:                              ;   in Loop: Header=BB42_23 Depth=1
	s_or_b32 exec_lo, exec_lo, s73
	s_and_saveexec_b32 s73, s13
	s_cbranch_execnz .LBB42_69
.LBB42_37:                              ;   in Loop: Header=BB42_23 Depth=1
	s_or_b32 exec_lo, exec_lo, s73
	s_and_saveexec_b32 s73, s14
	s_cbranch_execnz .LBB42_70
.LBB42_38:                              ;   in Loop: Header=BB42_23 Depth=1
	s_or_b32 exec_lo, exec_lo, s73
	s_and_saveexec_b32 s73, s15
	s_cbranch_execnz .LBB42_71
.LBB42_39:                              ;   in Loop: Header=BB42_23 Depth=1
	s_or_b32 exec_lo, exec_lo, s73
	s_and_saveexec_b32 s73, s16
	s_cbranch_execnz .LBB42_72
.LBB42_40:                              ;   in Loop: Header=BB42_23 Depth=1
	s_or_b32 exec_lo, exec_lo, s73
	s_and_saveexec_b32 s73, s17
	s_cbranch_execnz .LBB42_73
.LBB42_41:                              ;   in Loop: Header=BB42_23 Depth=1
	s_or_b32 exec_lo, exec_lo, s73
	s_and_saveexec_b32 s73, s18
	s_cbranch_execnz .LBB42_74
.LBB42_42:                              ;   in Loop: Header=BB42_23 Depth=1
	s_or_b32 exec_lo, exec_lo, s73
	s_and_saveexec_b32 s73, s19
	s_cbranch_execnz .LBB42_75
.LBB42_43:                              ;   in Loop: Header=BB42_23 Depth=1
	s_or_b32 exec_lo, exec_lo, s73
	s_and_saveexec_b32 s73, s20
	s_cbranch_execnz .LBB42_76
.LBB42_44:                              ;   in Loop: Header=BB42_23 Depth=1
	s_or_b32 exec_lo, exec_lo, s73
	s_and_saveexec_b32 s73, s21
	s_cbranch_execnz .LBB42_77
.LBB42_45:                              ;   in Loop: Header=BB42_23 Depth=1
	s_or_b32 exec_lo, exec_lo, s73
	s_and_saveexec_b32 s73, s22
	s_cbranch_execnz .LBB42_78
.LBB42_46:                              ;   in Loop: Header=BB42_23 Depth=1
	s_or_b32 exec_lo, exec_lo, s73
	s_and_saveexec_b32 s73, s23
	s_cbranch_execnz .LBB42_79
.LBB42_47:                              ;   in Loop: Header=BB42_23 Depth=1
	s_or_b32 exec_lo, exec_lo, s73
	s_and_saveexec_b32 s73, s24
	s_cbranch_execnz .LBB42_80
.LBB42_48:                              ;   in Loop: Header=BB42_23 Depth=1
	s_or_b32 exec_lo, exec_lo, s73
	s_and_saveexec_b32 s73, s25
	s_cbranch_execnz .LBB42_81
.LBB42_49:                              ;   in Loop: Header=BB42_23 Depth=1
	s_or_b32 exec_lo, exec_lo, s73
	s_and_saveexec_b32 s73, s26
	s_cbranch_execnz .LBB42_82
.LBB42_50:                              ;   in Loop: Header=BB42_23 Depth=1
	s_or_b32 exec_lo, exec_lo, s73
	s_and_saveexec_b32 s73, s27
	s_cbranch_execnz .LBB42_83
.LBB42_51:                              ;   in Loop: Header=BB42_23 Depth=1
	s_or_b32 exec_lo, exec_lo, s73
	s_and_saveexec_b32 s73, s28
	s_cbranch_execnz .LBB42_84
.LBB42_52:                              ;   in Loop: Header=BB42_23 Depth=1
	s_or_b32 exec_lo, exec_lo, s73
	s_and_saveexec_b32 s73, s29
	s_cbranch_execnz .LBB42_85
.LBB42_53:                              ;   in Loop: Header=BB42_23 Depth=1
	s_or_b32 exec_lo, exec_lo, s73
	s_and_saveexec_b32 s73, s30
	s_cbranch_execnz .LBB42_86
.LBB42_54:                              ;   in Loop: Header=BB42_23 Depth=1
	s_or_b32 exec_lo, exec_lo, s73
	s_and_saveexec_b32 s73, s31
	s_cbranch_execnz .LBB42_87
.LBB42_55:                              ;   in Loop: Header=BB42_23 Depth=1
	s_or_b32 exec_lo, exec_lo, s73
	s_and_saveexec_b32 s31, vcc_lo
	s_cbranch_execz .LBB42_22
	s_branch .LBB42_88
.LBB42_56:                              ;   in Loop: Header=BB42_23 Depth=1
	v_mov_b32_e32 v6, s40
	ds_read_b32 v6, v6
	s_waitcnt lgkmcnt(0)
	v_add_nc_u32_e32 v5, v6, v5
	s_or_b32 exec_lo, exec_lo, s73
	s_and_saveexec_b32 s73, s1
	s_cbranch_execz .LBB42_25
.LBB42_57:                              ;   in Loop: Header=BB42_23 Depth=1
	v_mov_b32_e32 v6, s41
	ds_read_b32 v6, v6
	s_waitcnt lgkmcnt(0)
	v_add_nc_u32_e32 v5, v6, v5
	s_or_b32 exec_lo, exec_lo, s73
	s_and_saveexec_b32 s73, s2
	s_cbranch_execz .LBB42_26
.LBB42_58:                              ;   in Loop: Header=BB42_23 Depth=1
	v_mov_b32_e32 v6, s43
	ds_read_b32 v6, v6
	s_waitcnt lgkmcnt(0)
	v_add_nc_u32_e32 v5, v6, v5
	s_or_b32 exec_lo, exec_lo, s73
	s_and_saveexec_b32 s73, s3
	s_cbranch_execz .LBB42_27
.LBB42_59:                              ;   in Loop: Header=BB42_23 Depth=1
	v_mov_b32_e32 v6, s44
	ds_read_b32 v6, v6
	s_waitcnt lgkmcnt(0)
	v_add_nc_u32_e32 v5, v6, v5
	s_or_b32 exec_lo, exec_lo, s73
	s_and_saveexec_b32 s73, s4
	s_cbranch_execz .LBB42_28
.LBB42_60:                              ;   in Loop: Header=BB42_23 Depth=1
	v_mov_b32_e32 v6, s45
	ds_read_b32 v6, v6
	s_waitcnt lgkmcnt(0)
	v_add_nc_u32_e32 v5, v6, v5
	s_or_b32 exec_lo, exec_lo, s73
	s_and_saveexec_b32 s73, s5
	s_cbranch_execz .LBB42_29
.LBB42_61:                              ;   in Loop: Header=BB42_23 Depth=1
	v_mov_b32_e32 v6, s46
	ds_read_b32 v6, v6
	s_waitcnt lgkmcnt(0)
	v_add_nc_u32_e32 v5, v6, v5
	s_or_b32 exec_lo, exec_lo, s73
	s_and_saveexec_b32 s73, s6
	s_cbranch_execz .LBB42_30
.LBB42_62:                              ;   in Loop: Header=BB42_23 Depth=1
	v_mov_b32_e32 v6, s47
	ds_read_b32 v6, v6
	s_waitcnt lgkmcnt(0)
	v_add_nc_u32_e32 v5, v6, v5
	s_or_b32 exec_lo, exec_lo, s73
	s_and_saveexec_b32 s73, s7
	s_cbranch_execz .LBB42_31
.LBB42_63:                              ;   in Loop: Header=BB42_23 Depth=1
	v_mov_b32_e32 v6, s48
	ds_read_b32 v6, v6
	s_waitcnt lgkmcnt(0)
	v_add_nc_u32_e32 v5, v6, v5
	s_or_b32 exec_lo, exec_lo, s73
	s_and_saveexec_b32 s73, s8
	s_cbranch_execz .LBB42_32
.LBB42_64:                              ;   in Loop: Header=BB42_23 Depth=1
	v_mov_b32_e32 v6, s49
	ds_read_b32 v6, v6
	s_waitcnt lgkmcnt(0)
	v_add_nc_u32_e32 v5, v6, v5
	s_or_b32 exec_lo, exec_lo, s73
	s_and_saveexec_b32 s73, s9
	s_cbranch_execz .LBB42_33
.LBB42_65:                              ;   in Loop: Header=BB42_23 Depth=1
	v_mov_b32_e32 v6, s50
	ds_read_b32 v6, v6
	s_waitcnt lgkmcnt(0)
	v_add_nc_u32_e32 v5, v6, v5
	s_or_b32 exec_lo, exec_lo, s73
	s_and_saveexec_b32 s73, s10
	s_cbranch_execz .LBB42_34
.LBB42_66:                              ;   in Loop: Header=BB42_23 Depth=1
	v_mov_b32_e32 v6, s51
	ds_read_b32 v6, v6
	s_waitcnt lgkmcnt(0)
	v_add_nc_u32_e32 v5, v6, v5
	s_or_b32 exec_lo, exec_lo, s73
	s_and_saveexec_b32 s73, s11
	s_cbranch_execz .LBB42_35
.LBB42_67:                              ;   in Loop: Header=BB42_23 Depth=1
	v_mov_b32_e32 v6, s52
	ds_read_b32 v6, v6
	s_waitcnt lgkmcnt(0)
	v_add_nc_u32_e32 v5, v6, v5
	s_or_b32 exec_lo, exec_lo, s73
	s_and_saveexec_b32 s73, s12
	s_cbranch_execz .LBB42_36
.LBB42_68:                              ;   in Loop: Header=BB42_23 Depth=1
	v_mov_b32_e32 v6, s53
	ds_read_b32 v6, v6
	s_waitcnt lgkmcnt(0)
	v_add_nc_u32_e32 v5, v6, v5
	s_or_b32 exec_lo, exec_lo, s73
	s_and_saveexec_b32 s73, s13
	s_cbranch_execz .LBB42_37
.LBB42_69:                              ;   in Loop: Header=BB42_23 Depth=1
	v_mov_b32_e32 v6, s54
	ds_read_b32 v6, v6
	s_waitcnt lgkmcnt(0)
	v_add_nc_u32_e32 v5, v6, v5
	s_or_b32 exec_lo, exec_lo, s73
	s_and_saveexec_b32 s73, s14
	s_cbranch_execz .LBB42_38
.LBB42_70:                              ;   in Loop: Header=BB42_23 Depth=1
	v_mov_b32_e32 v6, s55
	ds_read_b32 v6, v6
	s_waitcnt lgkmcnt(0)
	v_add_nc_u32_e32 v5, v6, v5
	s_or_b32 exec_lo, exec_lo, s73
	s_and_saveexec_b32 s73, s15
	s_cbranch_execz .LBB42_39
.LBB42_71:                              ;   in Loop: Header=BB42_23 Depth=1
	v_mov_b32_e32 v6, s56
	ds_read_b32 v6, v6
	s_waitcnt lgkmcnt(0)
	v_add_nc_u32_e32 v5, v6, v5
	s_or_b32 exec_lo, exec_lo, s73
	s_and_saveexec_b32 s73, s16
	s_cbranch_execz .LBB42_40
.LBB42_72:                              ;   in Loop: Header=BB42_23 Depth=1
	v_mov_b32_e32 v6, s57
	ds_read_b32 v6, v6
	s_waitcnt lgkmcnt(0)
	v_add_nc_u32_e32 v5, v6, v5
	s_or_b32 exec_lo, exec_lo, s73
	s_and_saveexec_b32 s73, s17
	s_cbranch_execz .LBB42_41
.LBB42_73:                              ;   in Loop: Header=BB42_23 Depth=1
	v_mov_b32_e32 v6, s58
	ds_read_b32 v6, v6
	s_waitcnt lgkmcnt(0)
	v_add_nc_u32_e32 v5, v6, v5
	s_or_b32 exec_lo, exec_lo, s73
	s_and_saveexec_b32 s73, s18
	s_cbranch_execz .LBB42_42
.LBB42_74:                              ;   in Loop: Header=BB42_23 Depth=1
	v_mov_b32_e32 v6, s59
	ds_read_b32 v6, v6
	s_waitcnt lgkmcnt(0)
	v_add_nc_u32_e32 v5, v6, v5
	s_or_b32 exec_lo, exec_lo, s73
	s_and_saveexec_b32 s73, s19
	s_cbranch_execz .LBB42_43
.LBB42_75:                              ;   in Loop: Header=BB42_23 Depth=1
	v_mov_b32_e32 v6, s60
	ds_read_b32 v6, v6
	s_waitcnt lgkmcnt(0)
	v_add_nc_u32_e32 v5, v6, v5
	s_or_b32 exec_lo, exec_lo, s73
	s_and_saveexec_b32 s73, s20
	s_cbranch_execz .LBB42_44
.LBB42_76:                              ;   in Loop: Header=BB42_23 Depth=1
	v_mov_b32_e32 v6, s61
	ds_read_b32 v6, v6
	s_waitcnt lgkmcnt(0)
	v_add_nc_u32_e32 v5, v6, v5
	s_or_b32 exec_lo, exec_lo, s73
	s_and_saveexec_b32 s73, s21
	s_cbranch_execz .LBB42_45
.LBB42_77:                              ;   in Loop: Header=BB42_23 Depth=1
	v_mov_b32_e32 v6, s62
	ds_read_b32 v6, v6
	s_waitcnt lgkmcnt(0)
	v_add_nc_u32_e32 v5, v6, v5
	s_or_b32 exec_lo, exec_lo, s73
	s_and_saveexec_b32 s73, s22
	s_cbranch_execz .LBB42_46
.LBB42_78:                              ;   in Loop: Header=BB42_23 Depth=1
	v_mov_b32_e32 v6, s63
	ds_read_b32 v6, v6
	s_waitcnt lgkmcnt(0)
	v_add_nc_u32_e32 v5, v6, v5
	s_or_b32 exec_lo, exec_lo, s73
	s_and_saveexec_b32 s73, s23
	s_cbranch_execz .LBB42_47
.LBB42_79:                              ;   in Loop: Header=BB42_23 Depth=1
	v_mov_b32_e32 v6, s64
	ds_read_b32 v6, v6
	s_waitcnt lgkmcnt(0)
	v_add_nc_u32_e32 v5, v6, v5
	s_or_b32 exec_lo, exec_lo, s73
	s_and_saveexec_b32 s73, s24
	s_cbranch_execz .LBB42_48
.LBB42_80:                              ;   in Loop: Header=BB42_23 Depth=1
	v_mov_b32_e32 v6, s65
	ds_read_b32 v6, v6
	s_waitcnt lgkmcnt(0)
	v_add_nc_u32_e32 v5, v6, v5
	s_or_b32 exec_lo, exec_lo, s73
	s_and_saveexec_b32 s73, s25
	s_cbranch_execz .LBB42_49
.LBB42_81:                              ;   in Loop: Header=BB42_23 Depth=1
	v_mov_b32_e32 v6, s66
	ds_read_b32 v6, v6
	s_waitcnt lgkmcnt(0)
	v_add_nc_u32_e32 v5, v6, v5
	s_or_b32 exec_lo, exec_lo, s73
	s_and_saveexec_b32 s73, s26
	s_cbranch_execz .LBB42_50
.LBB42_82:                              ;   in Loop: Header=BB42_23 Depth=1
	v_mov_b32_e32 v6, s67
	ds_read_b32 v6, v6
	s_waitcnt lgkmcnt(0)
	v_add_nc_u32_e32 v5, v6, v5
	s_or_b32 exec_lo, exec_lo, s73
	s_and_saveexec_b32 s73, s27
	s_cbranch_execz .LBB42_51
.LBB42_83:                              ;   in Loop: Header=BB42_23 Depth=1
	v_mov_b32_e32 v6, s68
	ds_read_b32 v6, v6
	s_waitcnt lgkmcnt(0)
	v_add_nc_u32_e32 v5, v6, v5
	s_or_b32 exec_lo, exec_lo, s73
	s_and_saveexec_b32 s73, s28
	s_cbranch_execz .LBB42_52
.LBB42_84:                              ;   in Loop: Header=BB42_23 Depth=1
	v_mov_b32_e32 v6, s69
	ds_read_b32 v6, v6
	s_waitcnt lgkmcnt(0)
	v_add_nc_u32_e32 v5, v6, v5
	s_or_b32 exec_lo, exec_lo, s73
	s_and_saveexec_b32 s73, s29
	s_cbranch_execz .LBB42_53
.LBB42_85:                              ;   in Loop: Header=BB42_23 Depth=1
	v_mov_b32_e32 v6, s70
	ds_read_b32 v6, v6
	s_waitcnt lgkmcnt(0)
	v_add_nc_u32_e32 v5, v6, v5
	s_or_b32 exec_lo, exec_lo, s73
	s_and_saveexec_b32 s73, s30
	s_cbranch_execz .LBB42_54
.LBB42_86:                              ;   in Loop: Header=BB42_23 Depth=1
	v_mov_b32_e32 v6, s71
	ds_read_b32 v6, v6
	s_waitcnt lgkmcnt(0)
	v_add_nc_u32_e32 v5, v6, v5
	s_or_b32 exec_lo, exec_lo, s73
	s_and_saveexec_b32 s73, s31
	s_cbranch_execz .LBB42_55
.LBB42_87:                              ;   in Loop: Header=BB42_23 Depth=1
	v_lshlrev_b32_e32 v6, 2, v1
	v_lshlrev_b32_e32 v9, 2, v5
	v_add_nc_u32_e32 v6, 0, v6
	v_add3_u32 v6, v6, v9, -4
	ds_write_b32 v6, v4
	s_or_b32 exec_lo, exec_lo, s73
	s_and_saveexec_b32 s31, vcc_lo
	s_cbranch_execz .LBB42_22
.LBB42_88:                              ;   in Loop: Header=BB42_23 Depth=1
	v_mov_b32_e32 v4, s72
	ds_write_b32 v4, v5
	s_branch .LBB42_22
.LBB42_89:                              ;   in Loop: Header=BB42_90 Depth=1
	s_inst_prefetch 0x2
	s_or_b32 exec_lo, exec_lo, s4
	v_add_co_u32 v1, vcc_lo, 0x400, v1
	v_add_co_ci_u32_e64 v2, null, 0, v2, vcc_lo
	v_cmp_le_i64_e32 vcc_lo, s[0:1], v[1:2]
	s_or_b32 s3, vcc_lo, s3
	s_andn2_b32 exec_lo, exec_lo, s3
	s_cbranch_execz .LBB42_20
.LBB42_90:                              ; =>This Loop Header: Depth=1
                                        ;     Child Loop BB42_93 Depth 2
	v_lshlrev_b64 v[3:4], 2, v[1:2]
	s_mov_b32 s4, 0
                                        ; implicit-def: $sgpr5
	v_add_co_u32 v3, vcc_lo, s14, v3
	v_add_co_ci_u32_e64 v4, null, s15, v4, vcc_lo
	global_load_dword v3, v[3:4], off
	s_waitcnt vmcnt(0)
	v_subrev_nc_u32_e32 v3, s43, v3
	v_mul_lo_u32 v4, 0x89, v3
	v_and_b32_e32 v4, 0x7fff, v4
	s_inst_prefetch 0x1
	s_branch .LBB42_93
	.p2align	6
.LBB42_91:                              ;   in Loop: Header=BB42_93 Depth=2
	s_or_b32 exec_lo, exec_lo, s7
	s_andn2_b32 s5, s5, exec_lo
	s_and_b32 s7, s8, exec_lo
	s_or_b32 s5, s5, s7
.LBB42_92:                              ;   in Loop: Header=BB42_93 Depth=2
	s_or_b32 exec_lo, exec_lo, s6
	s_xor_b32 s6, s5, -1
	s_and_b32 s6, exec_lo, s6
	s_or_b32 s4, s6, s4
	s_andn2_b32 exec_lo, exec_lo, s4
	s_cbranch_execz .LBB42_89
.LBB42_93:                              ;   Parent Loop BB42_90 Depth=1
                                        ; =>  This Inner Loop Header: Depth=2
	v_lshl_add_u32 v5, v4, 2, 0
	s_andn2_b32 s5, s5, exec_lo
	s_mov_b32 s6, exec_lo
	ds_read_b32 v6, v5
	s_waitcnt lgkmcnt(0)
	v_cmpx_ne_u32_e64 v6, v3
	s_cbranch_execz .LBB42_92
; %bb.94:                               ;   in Loop: Header=BB42_93 Depth=2
	s_mov_b32 s7, exec_lo
	v_cmpx_ne_u32_e64 s33, v6
	s_xor_b32 s7, exec_lo, s7
; %bb.95:                               ;   in Loop: Header=BB42_93 Depth=2
	v_add_nc_u32_e32 v4, 1, v4
                                        ; implicit-def: $vgpr5
	v_and_b32_e32 v4, 0x7fff, v4
; %bb.96:                               ;   in Loop: Header=BB42_93 Depth=2
	s_or_saveexec_b32 s7, s7
	s_mov_b32 s8, -1
	s_xor_b32 exec_lo, exec_lo, s7
	s_cbranch_execz .LBB42_91
; %bb.97:                               ;   in Loop: Header=BB42_93 Depth=2
	v_mov_b32_e32 v6, s33
	ds_cmpst_rtn_b32 v5, v5, v6, v3
	s_waitcnt lgkmcnt(0)
	v_cmp_ne_u32_e32 vcc_lo, s33, v5
	s_orn2_b32 s8, vcc_lo, exec_lo
	s_branch .LBB42_91
.LBB42_98:
	s_or_b32 exec_lo, exec_lo, s35
	s_ashr_i32 s35, s34, 31
	s_mov_b32 s4, exec_lo
	s_lshl_b64 s[0:1], s[34:35], 3
	s_add_u32 s0, s36, s0
	s_addc_u32 s1, s37, s1
	s_load_dwordx4 s[0:3], s[0:1], 0x0
	s_waitcnt lgkmcnt(0)
	s_sub_i32 s3, s2, s0
	v_cmpx_gt_i32_e64 s3, v0
	s_cbranch_execz .LBB42_108
; %bb.99:
	s_sub_u32 s4, s0, s42
	s_subb_u32 s5, s1, 0
	s_sub_i32 s0, s0, s2
	s_and_b32 s1, s3, 7
	s_cmp_lt_u32 s0, -7
	s_mov_b32 s8, 0
	s_cselect_b32 s2, -1, 0
	s_and_b32 s6, s3, -8
	s_cmp_lg_u32 s1, 0
	s_cselect_b32 s7, -1, 0
	s_branch .LBB42_101
.LBB42_100:                             ;   in Loop: Header=BB42_101 Depth=1
	v_lshlrev_b64 v[1:2], 2, v[1:2]
	v_add_nc_u32_e32 v0, 0x400, v0
	s_waitcnt lgkmcnt(0)
	v_add_nc_u32_e32 v3, s42, v3
	v_cmp_le_i32_e32 vcc_lo, s3, v0
	v_add_co_u32 v1, s0, s38, v1
	v_add_co_ci_u32_e64 v2, null, s39, v2, s0
	s_or_b32 s8, vcc_lo, s8
	global_store_dword v[1:2], v3, off
	s_andn2_b32 exec_lo, exec_lo, s8
	s_cbranch_execz .LBB42_108
.LBB42_101:                             ; =>This Loop Header: Depth=1
                                        ;     Child Loop BB42_103 Depth 2
                                        ;     Child Loop BB42_107 Depth 2
	v_lshl_add_u32 v1, v0, 2, 0
	s_andn2_b32 vcc_lo, exec_lo, s2
	s_mov_b32 s0, 0
	ds_read_b32 v3, v1
	v_mov_b32_e32 v1, s4
	v_mov_b32_e32 v2, s5
	s_cbranch_vccnz .LBB42_105
; %bb.102:                              ;   in Loop: Header=BB42_101 Depth=1
	v_mov_b32_e32 v1, s4
	v_mov_b32_e32 v2, s5
	s_mov_b32 s9, 0
	s_mov_b32 s10, 0
.LBB42_103:                             ;   Parent Loop BB42_101 Depth=1
                                        ; =>  This Inner Loop Header: Depth=2
	v_mov_b32_e32 v10, s10
	s_add_i32 s9, s9, 8
	s_add_i32 s10, s10, 32
	s_cmp_eq_u32 s6, s9
	ds_read2_b32 v[4:5], v10 offset1:1
	ds_read2_b32 v[6:7], v10 offset0:2 offset1:3
	ds_read2_b32 v[8:9], v10 offset0:4 offset1:5
	;; [unrolled: 1-line block ×3, first 2 shown]
	s_waitcnt lgkmcnt(3)
	v_cmp_gt_i32_e32 vcc_lo, v3, v4
	v_cndmask_b32_e64 v4, 0, 1, vcc_lo
	v_cmp_gt_i32_e32 vcc_lo, v3, v5
	v_cndmask_b32_e64 v5, 0, 1, vcc_lo
	s_waitcnt lgkmcnt(2)
	v_cmp_gt_i32_e32 vcc_lo, v3, v6
	v_cndmask_b32_e64 v6, 0, 1, vcc_lo
	v_cmp_gt_i32_e32 vcc_lo, v3, v7
	v_cndmask_b32_e64 v7, 0, 1, vcc_lo
	s_waitcnt lgkmcnt(1)
	v_cmp_gt_i32_e32 vcc_lo, v3, v8
	v_cndmask_b32_e64 v8, 0, 1, vcc_lo
	v_add_co_u32 v1, vcc_lo, v1, v4
	v_add_co_ci_u32_e64 v2, null, 0, v2, vcc_lo
	v_cmp_gt_i32_e32 vcc_lo, v3, v9
	v_add_co_u32 v1, s0, v1, v5
	v_add_co_ci_u32_e64 v2, null, 0, v2, s0
	v_cndmask_b32_e64 v4, 0, 1, vcc_lo
	v_add_co_u32 v1, vcc_lo, v1, v6
	v_add_co_ci_u32_e64 v2, null, 0, v2, vcc_lo
	s_waitcnt lgkmcnt(0)
	v_cmp_gt_i32_e32 vcc_lo, v3, v10
	v_add_co_u32 v1, s0, v1, v7
	v_add_co_ci_u32_e64 v2, null, 0, v2, s0
	v_cndmask_b32_e64 v5, 0, 1, vcc_lo
	v_add_co_u32 v1, vcc_lo, v1, v8
	v_add_co_ci_u32_e64 v2, null, 0, v2, vcc_lo
	v_cmp_gt_i32_e32 vcc_lo, v3, v11
	v_add_co_u32 v1, s0, v1, v4
	v_add_co_ci_u32_e64 v2, null, 0, v2, s0
	v_cndmask_b32_e64 v4, 0, 1, vcc_lo
	v_add_co_u32 v1, vcc_lo, v1, v5
	v_add_co_ci_u32_e64 v2, null, 0, v2, vcc_lo
	v_add_co_u32 v1, vcc_lo, v1, v4
	v_add_co_ci_u32_e64 v2, null, 0, v2, vcc_lo
	s_cbranch_scc0 .LBB42_103
; %bb.104:                              ;   in Loop: Header=BB42_101 Depth=1
	s_mov_b32 s0, s6
.LBB42_105:                             ;   in Loop: Header=BB42_101 Depth=1
	s_andn2_b32 vcc_lo, exec_lo, s7
	s_cbranch_vccnz .LBB42_100
; %bb.106:                              ;   in Loop: Header=BB42_101 Depth=1
	s_lshl_b32 s0, s0, 2
	s_mov_b32 s9, s1
	s_add_i32 s0, s0, 0
.LBB42_107:                             ;   Parent Loop BB42_101 Depth=1
                                        ; =>  This Inner Loop Header: Depth=2
	v_mov_b32_e32 v4, s0
	s_add_i32 s9, s9, -1
	s_add_i32 s0, s0, 4
	s_cmp_lg_u32 s9, 0
	ds_read_b32 v4, v4
	s_waitcnt lgkmcnt(0)
	v_cmp_gt_i32_e32 vcc_lo, v3, v4
	v_cndmask_b32_e64 v4, 0, 1, vcc_lo
	v_add_co_u32 v1, vcc_lo, v1, v4
	v_add_co_ci_u32_e64 v2, null, 0, v2, vcc_lo
	s_cbranch_scc1 .LBB42_107
	s_branch .LBB42_100
.LBB42_108:
	s_endpgm
	.section	.rodata,"a",@progbits
	.p2align	6, 0x0
	.amdhsa_kernel _ZN9rocsparseL35csrgemm_symbolic_fill_block_per_rowILj1024ELj64ELj32768ELj137ELj32EliEEvT5_PKS1_S3_PKT4_S3_S6_S3_S6_S3_S6_PS1_21rocsparse_index_base_S8_S8_S8_bb
		.amdhsa_group_segment_fixed_size 0
		.amdhsa_private_segment_fixed_size 0
		.amdhsa_kernarg_size 108
		.amdhsa_user_sgpr_count 6
		.amdhsa_user_sgpr_private_segment_buffer 1
		.amdhsa_user_sgpr_dispatch_ptr 0
		.amdhsa_user_sgpr_queue_ptr 0
		.amdhsa_user_sgpr_kernarg_segment_ptr 1
		.amdhsa_user_sgpr_dispatch_id 0
		.amdhsa_user_sgpr_flat_scratch_init 0
		.amdhsa_user_sgpr_private_segment_size 0
		.amdhsa_wavefront_size32 1
		.amdhsa_uses_dynamic_stack 0
		.amdhsa_system_sgpr_private_segment_wavefront_offset 0
		.amdhsa_system_sgpr_workgroup_id_x 1
		.amdhsa_system_sgpr_workgroup_id_y 0
		.amdhsa_system_sgpr_workgroup_id_z 0
		.amdhsa_system_sgpr_workgroup_info 0
		.amdhsa_system_vgpr_workitem_id 0
		.amdhsa_next_free_vgpr 15
		.amdhsa_next_free_sgpr 74
		.amdhsa_reserve_vcc 1
		.amdhsa_reserve_flat_scratch 0
		.amdhsa_float_round_mode_32 0
		.amdhsa_float_round_mode_16_64 0
		.amdhsa_float_denorm_mode_32 3
		.amdhsa_float_denorm_mode_16_64 3
		.amdhsa_dx10_clamp 1
		.amdhsa_ieee_mode 1
		.amdhsa_fp16_overflow 0
		.amdhsa_workgroup_processor_mode 1
		.amdhsa_memory_ordered 1
		.amdhsa_forward_progress 1
		.amdhsa_shared_vgpr_count 0
		.amdhsa_exception_fp_ieee_invalid_op 0
		.amdhsa_exception_fp_denorm_src 0
		.amdhsa_exception_fp_ieee_div_zero 0
		.amdhsa_exception_fp_ieee_overflow 0
		.amdhsa_exception_fp_ieee_underflow 0
		.amdhsa_exception_fp_ieee_inexact 0
		.amdhsa_exception_int_div_zero 0
	.end_amdhsa_kernel
	.section	.text._ZN9rocsparseL35csrgemm_symbolic_fill_block_per_rowILj1024ELj64ELj32768ELj137ELj32EliEEvT5_PKS1_S3_PKT4_S3_S6_S3_S6_S3_S6_PS1_21rocsparse_index_base_S8_S8_S8_bb,"axG",@progbits,_ZN9rocsparseL35csrgemm_symbolic_fill_block_per_rowILj1024ELj64ELj32768ELj137ELj32EliEEvT5_PKS1_S3_PKT4_S3_S6_S3_S6_S3_S6_PS1_21rocsparse_index_base_S8_S8_S8_bb,comdat
.Lfunc_end42:
	.size	_ZN9rocsparseL35csrgemm_symbolic_fill_block_per_rowILj1024ELj64ELj32768ELj137ELj32EliEEvT5_PKS1_S3_PKT4_S3_S6_S3_S6_S3_S6_PS1_21rocsparse_index_base_S8_S8_S8_bb, .Lfunc_end42-_ZN9rocsparseL35csrgemm_symbolic_fill_block_per_rowILj1024ELj64ELj32768ELj137ELj32EliEEvT5_PKS1_S3_PKT4_S3_S6_S3_S6_S3_S6_PS1_21rocsparse_index_base_S8_S8_S8_bb
                                        ; -- End function
	.set _ZN9rocsparseL35csrgemm_symbolic_fill_block_per_rowILj1024ELj64ELj32768ELj137ELj32EliEEvT5_PKS1_S3_PKT4_S3_S6_S3_S6_S3_S6_PS1_21rocsparse_index_base_S8_S8_S8_bb.num_vgpr, 15
	.set _ZN9rocsparseL35csrgemm_symbolic_fill_block_per_rowILj1024ELj64ELj32768ELj137ELj32EliEEvT5_PKS1_S3_PKT4_S3_S6_S3_S6_S3_S6_PS1_21rocsparse_index_base_S8_S8_S8_bb.num_agpr, 0
	.set _ZN9rocsparseL35csrgemm_symbolic_fill_block_per_rowILj1024ELj64ELj32768ELj137ELj32EliEEvT5_PKS1_S3_PKT4_S3_S6_S3_S6_S3_S6_PS1_21rocsparse_index_base_S8_S8_S8_bb.numbered_sgpr, 74
	.set _ZN9rocsparseL35csrgemm_symbolic_fill_block_per_rowILj1024ELj64ELj32768ELj137ELj32EliEEvT5_PKS1_S3_PKT4_S3_S6_S3_S6_S3_S6_PS1_21rocsparse_index_base_S8_S8_S8_bb.num_named_barrier, 0
	.set _ZN9rocsparseL35csrgemm_symbolic_fill_block_per_rowILj1024ELj64ELj32768ELj137ELj32EliEEvT5_PKS1_S3_PKT4_S3_S6_S3_S6_S3_S6_PS1_21rocsparse_index_base_S8_S8_S8_bb.private_seg_size, 0
	.set _ZN9rocsparseL35csrgemm_symbolic_fill_block_per_rowILj1024ELj64ELj32768ELj137ELj32EliEEvT5_PKS1_S3_PKT4_S3_S6_S3_S6_S3_S6_PS1_21rocsparse_index_base_S8_S8_S8_bb.uses_vcc, 1
	.set _ZN9rocsparseL35csrgemm_symbolic_fill_block_per_rowILj1024ELj64ELj32768ELj137ELj32EliEEvT5_PKS1_S3_PKT4_S3_S6_S3_S6_S3_S6_PS1_21rocsparse_index_base_S8_S8_S8_bb.uses_flat_scratch, 0
	.set _ZN9rocsparseL35csrgemm_symbolic_fill_block_per_rowILj1024ELj64ELj32768ELj137ELj32EliEEvT5_PKS1_S3_PKT4_S3_S6_S3_S6_S3_S6_PS1_21rocsparse_index_base_S8_S8_S8_bb.has_dyn_sized_stack, 0
	.set _ZN9rocsparseL35csrgemm_symbolic_fill_block_per_rowILj1024ELj64ELj32768ELj137ELj32EliEEvT5_PKS1_S3_PKT4_S3_S6_S3_S6_S3_S6_PS1_21rocsparse_index_base_S8_S8_S8_bb.has_recursion, 0
	.set _ZN9rocsparseL35csrgemm_symbolic_fill_block_per_rowILj1024ELj64ELj32768ELj137ELj32EliEEvT5_PKS1_S3_PKT4_S3_S6_S3_S6_S3_S6_PS1_21rocsparse_index_base_S8_S8_S8_bb.has_indirect_call, 0
	.section	.AMDGPU.csdata,"",@progbits
; Kernel info:
; codeLenInByte = 4076
; TotalNumSgprs: 76
; NumVgprs: 15
; ScratchSize: 0
; MemoryBound: 0
; FloatMode: 240
; IeeeMode: 1
; LDSByteSize: 0 bytes/workgroup (compile time only)
; SGPRBlocks: 0
; VGPRBlocks: 1
; NumSGPRsForWavesPerEU: 76
; NumVGPRsForWavesPerEU: 15
; Occupancy: 16
; WaveLimiterHint : 1
; COMPUTE_PGM_RSRC2:SCRATCH_EN: 0
; COMPUTE_PGM_RSRC2:USER_SGPR: 6
; COMPUTE_PGM_RSRC2:TRAP_HANDLER: 0
; COMPUTE_PGM_RSRC2:TGID_X_EN: 1
; COMPUTE_PGM_RSRC2:TGID_Y_EN: 0
; COMPUTE_PGM_RSRC2:TGID_Z_EN: 0
; COMPUTE_PGM_RSRC2:TIDIG_COMP_CNT: 0
	.section	.text._ZN9rocsparseL35csrgemm_symbolic_fill_block_per_rowILj1024ELj64ELj32768ELj137ELj64EliEEvT5_PKS1_S3_PKT4_S3_S6_S3_S6_S3_S6_PS1_21rocsparse_index_base_S8_S8_S8_bb,"axG",@progbits,_ZN9rocsparseL35csrgemm_symbolic_fill_block_per_rowILj1024ELj64ELj32768ELj137ELj64EliEEvT5_PKS1_S3_PKT4_S3_S6_S3_S6_S3_S6_PS1_21rocsparse_index_base_S8_S8_S8_bb,comdat
	.globl	_ZN9rocsparseL35csrgemm_symbolic_fill_block_per_rowILj1024ELj64ELj32768ELj137ELj64EliEEvT5_PKS1_S3_PKT4_S3_S6_S3_S6_S3_S6_PS1_21rocsparse_index_base_S8_S8_S8_bb ; -- Begin function _ZN9rocsparseL35csrgemm_symbolic_fill_block_per_rowILj1024ELj64ELj32768ELj137ELj64EliEEvT5_PKS1_S3_PKT4_S3_S6_S3_S6_S3_S6_PS1_21rocsparse_index_base_S8_S8_S8_bb
	.p2align	8
	.type	_ZN9rocsparseL35csrgemm_symbolic_fill_block_per_rowILj1024ELj64ELj32768ELj137ELj64EliEEvT5_PKS1_S3_PKT4_S3_S6_S3_S6_S3_S6_PS1_21rocsparse_index_base_S8_S8_S8_bb,@function
_ZN9rocsparseL35csrgemm_symbolic_fill_block_per_rowILj1024ELj64ELj32768ELj137ELj64EliEEvT5_PKS1_S3_PKT4_S3_S6_S3_S6_S3_S6_PS1_21rocsparse_index_base_S8_S8_S8_bb: ; @_ZN9rocsparseL35csrgemm_symbolic_fill_block_per_rowILj1024ELj64ELj32768ELj137ELj64EliEEvT5_PKS1_S3_PKT4_S3_S6_S3_S6_S3_S6_PS1_21rocsparse_index_base_S8_S8_S8_bb
; %bb.0:
	s_clause 0x3
	s_load_dword s30, s[4:5], 0x0
	s_load_dwordx4 s[24:27], s[4:5], 0x48
	s_load_dwordx8 s[8:15], s[4:5], 0x28
	s_load_dwordx8 s[16:23], s[4:5], 0x8
	v_lshl_add_u32 v7, v0, 2, 0
	v_or_b32_e32 v8, 0xfffffc00, v0
	s_mov_b32 s0, 0
	v_mov_b32_e32 v1, v7
	v_mov_b32_e32 v3, v8
	s_waitcnt lgkmcnt(0)
	v_mov_b32_e32 v2, s30
.LBB43_1:                               ; =>This Inner Loop Header: Depth=1
	v_add_nc_u32_e32 v3, 0x400, v3
	ds_write_b32 v1, v2
	v_add_nc_u32_e32 v1, 0x1000, v1
	v_cmp_lt_u32_e32 vcc_lo, 0x7bff, v3
	s_or_b32 s0, vcc_lo, s0
	s_andn2_b32 exec_lo, exec_lo, s0
	s_cbranch_execnz .LBB43_1
; %bb.2:
	s_or_b32 exec_lo, exec_lo, s0
	s_load_dword s2, s[4:5], 0x68
	s_waitcnt lgkmcnt(0)
	s_barrier
	buffer_gl0_inv
	s_load_dword s0, s[16:17], 0x0
	s_mov_b32 s1, 0
	v_lshrrev_b32_e32 v9, 6, v0
	s_bitcmp1_b32 s2, 0
	s_cselect_b32 s3, -1, 0
	s_waitcnt lgkmcnt(0)
	s_add_i32 s0, s0, s6
	s_lshl_b64 s[0:1], s[0:1], 2
	s_add_u32 s0, s18, s0
	s_addc_u32 s1, s19, s1
	s_load_dwordx4 s[16:19], s[4:5], 0x58
	s_load_dword s28, s[0:1], 0x0
	s_and_b32 vcc_lo, exec_lo, s3
	s_cbranch_vccz .LBB43_18
; %bb.3:
	s_waitcnt lgkmcnt(0)
	s_ashr_i32 s29, s28, 31
	s_mov_b32 s3, exec_lo
	s_lshl_b64 s[0:1], s[28:29], 3
	s_add_u32 s0, s20, s0
	s_addc_u32 s1, s21, s1
	s_load_dwordx4 s[4:7], s[0:1], 0x0
	v_sub_co_u32 v1, s0, v9, s16
	v_sub_co_ci_u32_e64 v2, null, 0, 0, s0
	s_waitcnt lgkmcnt(0)
	v_add_co_u32 v1, vcc_lo, s4, v1
	v_add_co_ci_u32_e64 v2, null, s5, v2, vcc_lo
	s_sub_u32 s0, s6, s16
	s_subb_u32 s1, s7, 0
	v_cmpx_gt_i64_e64 s[0:1], v[1:2]
	s_cbranch_execz .LBB43_17
; %bb.4:
	v_and_b32_e32 v3, 63, v0
	s_mov_b32 s5, s17
	v_sub_co_u32 v10, s4, v3, s17
	v_sub_co_ci_u32_e64 v11, null, 0, 0, s4
	s_mov_b32 s4, 0
	s_branch .LBB43_6
.LBB43_5:                               ;   in Loop: Header=BB43_6 Depth=1
	s_or_b32 exec_lo, exec_lo, s6
	v_add_co_u32 v1, vcc_lo, v1, 16
	v_add_co_ci_u32_e64 v2, null, 0, v2, vcc_lo
	v_cmp_le_i64_e32 vcc_lo, s[0:1], v[1:2]
	s_or_b32 s4, vcc_lo, s4
	s_andn2_b32 exec_lo, exec_lo, s4
	s_cbranch_execz .LBB43_17
.LBB43_6:                               ; =>This Loop Header: Depth=1
                                        ;     Child Loop BB43_9 Depth 2
                                        ;       Child Loop BB43_12 Depth 3
	v_lshlrev_b64 v[3:4], 2, v[1:2]
	s_mov_b32 s6, exec_lo
	v_add_co_u32 v3, vcc_lo, s22, v3
	v_add_co_ci_u32_e64 v4, null, s23, v4, vcc_lo
	global_load_dword v3, v[3:4], off
	s_waitcnt vmcnt(0)
	v_subrev_nc_u32_e32 v3, s16, v3
	v_ashrrev_i32_e32 v4, 31, v3
	v_lshlrev_b64 v[3:4], 3, v[3:4]
	v_add_co_u32 v3, vcc_lo, s8, v3
	v_add_co_ci_u32_e64 v4, null, s9, v4, vcc_lo
	global_load_dwordx4 v[12:15], v[3:4], off
	s_waitcnt vmcnt(0)
	v_sub_co_u32 v3, vcc_lo, v14, s5
	v_subrev_co_ci_u32_e64 v4, null, 0, v15, vcc_lo
	v_add_co_u32 v5, vcc_lo, v12, v10
	v_add_co_ci_u32_e64 v6, null, v13, v11, vcc_lo
	v_cmpx_lt_i64_e64 v[5:6], v[3:4]
	s_cbranch_execz .LBB43_5
; %bb.7:                                ;   in Loop: Header=BB43_6 Depth=1
	s_mov_b32 s7, 0
	s_branch .LBB43_9
.LBB43_8:                               ;   in Loop: Header=BB43_9 Depth=2
	s_inst_prefetch 0x2
	s_or_b32 exec_lo, exec_lo, s20
	v_add_co_u32 v5, vcc_lo, v5, 64
	v_add_co_ci_u32_e64 v6, null, 0, v6, vcc_lo
	v_cmp_ge_i64_e32 vcc_lo, v[5:6], v[3:4]
	s_or_b32 s7, vcc_lo, s7
	s_andn2_b32 exec_lo, exec_lo, s7
	s_cbranch_execz .LBB43_5
.LBB43_9:                               ;   Parent Loop BB43_6 Depth=1
                                        ; =>  This Loop Header: Depth=2
                                        ;       Child Loop BB43_12 Depth 3
	v_lshlrev_b64 v[12:13], 2, v[5:6]
	s_mov_b32 s20, 0
                                        ; implicit-def: $sgpr21
	v_add_co_u32 v12, vcc_lo, s10, v12
	v_add_co_ci_u32_e64 v13, null, s11, v13, vcc_lo
	global_load_dword v12, v[12:13], off
	s_waitcnt vmcnt(0)
	v_subrev_nc_u32_e32 v12, s17, v12
	v_mul_lo_u32 v13, 0x89, v12
	v_and_b32_e32 v13, 0x7fff, v13
	s_inst_prefetch 0x1
	s_branch .LBB43_12
	.p2align	6
.LBB43_10:                              ;   in Loop: Header=BB43_12 Depth=3
	s_or_b32 exec_lo, exec_lo, s31
	s_andn2_b32 s21, s21, exec_lo
	s_and_b32 s31, s33, exec_lo
	s_or_b32 s21, s21, s31
.LBB43_11:                              ;   in Loop: Header=BB43_12 Depth=3
	s_or_b32 exec_lo, exec_lo, s29
	s_xor_b32 s29, s21, -1
	s_and_b32 s29, exec_lo, s29
	s_or_b32 s20, s29, s20
	s_andn2_b32 exec_lo, exec_lo, s20
	s_cbranch_execz .LBB43_8
.LBB43_12:                              ;   Parent Loop BB43_6 Depth=1
                                        ;     Parent Loop BB43_9 Depth=2
                                        ; =>    This Inner Loop Header: Depth=3
	v_lshl_add_u32 v14, v13, 2, 0
	s_andn2_b32 s21, s21, exec_lo
	s_mov_b32 s29, exec_lo
	ds_read_b32 v15, v14
	s_waitcnt lgkmcnt(0)
	v_cmpx_ne_u32_e64 v15, v12
	s_cbranch_execz .LBB43_11
; %bb.13:                               ;   in Loop: Header=BB43_12 Depth=3
	s_mov_b32 s31, exec_lo
	v_cmpx_ne_u32_e64 s30, v15
	s_xor_b32 s31, exec_lo, s31
; %bb.14:                               ;   in Loop: Header=BB43_12 Depth=3
	v_add_nc_u32_e32 v13, 1, v13
                                        ; implicit-def: $vgpr14
	v_and_b32_e32 v13, 0x7fff, v13
; %bb.15:                               ;   in Loop: Header=BB43_12 Depth=3
	s_or_saveexec_b32 s31, s31
	s_mov_b32 s33, -1
	s_xor_b32 exec_lo, exec_lo, s31
	s_cbranch_execz .LBB43_10
; %bb.16:                               ;   in Loop: Header=BB43_12 Depth=3
	v_mov_b32_e32 v15, s30
	ds_cmpst_rtn_b32 v14, v14, v15, v12
	s_waitcnt lgkmcnt(0)
	v_cmp_ne_u32_e32 vcc_lo, s30, v14
	s_orn2_b32 s33, vcc_lo, exec_lo
	s_branch .LBB43_10
.LBB43_17:
	s_or_b32 exec_lo, exec_lo, s3
.LBB43_18:
	s_bfe_u32 s0, s2, 0x10008
	s_cmp_eq_u32 s0, 0
	s_cbranch_scc1 .LBB43_21
; %bb.19:
	s_waitcnt lgkmcnt(0)
	s_ashr_i32 s29, s28, 31
	v_sub_co_u32 v1, s4, v0, s19
	s_lshl_b64 s[0:1], s[28:29], 3
	v_sub_co_ci_u32_e64 v2, null, 0, 0, s4
	s_add_u32 s0, s12, s0
	s_addc_u32 s1, s13, s1
	s_load_dwordx4 s[0:3], s[0:1], 0x0
	s_waitcnt lgkmcnt(0)
	v_add_co_u32 v1, vcc_lo, s0, v1
	v_add_co_ci_u32_e64 v2, null, s1, v2, vcc_lo
	s_sub_u32 s0, s2, s19
	s_subb_u32 s1, s3, 0
	s_mov_b32 s3, 0
	s_mov_b32 s2, exec_lo
	v_cmpx_gt_i64_e64 s[0:1], v[1:2]
	s_cbranch_execnz .LBB43_58
.LBB43_20:
	s_or_b32 exec_lo, exec_lo, s2
.LBB43_21:
	v_mbcnt_lo_u32_b32 v1, -1, 0
	v_lshlrev_b32_e32 v2, 2, v9
	s_add_i32 s36, 0, 0x2003c
	v_cmp_lt_u32_e64 s0, 63, v0
	v_cmp_lt_u32_e64 s1, 0x7f, v0
	v_xor_b32_e32 v3, 31, v1
	v_mov_b32_e32 v1, 0
	v_add3_u32 v2, 0x20000, 0, v2
	v_cmp_lt_u32_e64 s2, 0xbf, v0
	v_cmp_lt_u32_e64 s3, 0xff, v0
	v_lshrrev_b32_e64 v3, v3, -1
	v_cmp_lt_u32_e64 s4, 0x13f, v0
	v_cmp_lt_u32_e64 s5, 0x17f, v0
	;; [unrolled: 1-line block ×11, first 2 shown]
	v_mov_b32_e32 v4, s36
	s_waitcnt lgkmcnt(0)
	s_mov_b32 s16, 0
	s_add_i32 s17, 0, 0x20000
	s_add_i32 s19, 0, 0x20004
	;; [unrolled: 1-line block ×15, first 2 shown]
	s_barrier
	v_cmp_eq_u32_e32 vcc_lo, 0x3ff, v0
	buffer_gl0_inv
	s_branch .LBB43_23
.LBB43_22:                              ;   in Loop: Header=BB43_23 Depth=1
	s_or_b32 exec_lo, exec_lo, s15
	s_waitcnt lgkmcnt(0)
	s_barrier
	buffer_gl0_inv
	ds_read_b32 v5, v4
	v_add_nc_u32_e32 v8, 0x400, v8
	v_add_nc_u32_e32 v7, 0x1000, v7
	v_cmp_lt_u32_e64 s15, 0x7bff, v8
	s_or_b32 s16, s15, s16
	s_waitcnt lgkmcnt(0)
	v_add_nc_u32_e32 v1, v5, v1
	s_andn2_b32 exec_lo, exec_lo, s16
	s_cbranch_execz .LBB43_66
.LBB43_23:                              ; =>This Inner Loop Header: Depth=1
	ds_read_b32 v5, v7
	s_waitcnt lgkmcnt(0)
	s_barrier
	buffer_gl0_inv
	v_cmp_gt_i32_e64 s15, s30, v5
	v_and_b32_e32 v6, s15, v3
	s_bcnt1_i32_b32 s41, s15
	v_mov_b32_e32 v9, s41
	v_bcnt_u32_b32 v6, v6, 0
	ds_write_b32 v2, v9
	s_waitcnt lgkmcnt(0)
	s_barrier
	buffer_gl0_inv
	s_and_saveexec_b32 s41, s0
	s_cbranch_execnz .LBB43_40
; %bb.24:                               ;   in Loop: Header=BB43_23 Depth=1
	s_or_b32 exec_lo, exec_lo, s41
	s_and_saveexec_b32 s41, s1
	s_cbranch_execnz .LBB43_41
.LBB43_25:                              ;   in Loop: Header=BB43_23 Depth=1
	s_or_b32 exec_lo, exec_lo, s41
	s_and_saveexec_b32 s41, s2
	s_cbranch_execnz .LBB43_42
.LBB43_26:                              ;   in Loop: Header=BB43_23 Depth=1
	s_or_b32 exec_lo, exec_lo, s41
	s_and_saveexec_b32 s41, s3
	s_cbranch_execnz .LBB43_43
.LBB43_27:                              ;   in Loop: Header=BB43_23 Depth=1
	s_or_b32 exec_lo, exec_lo, s41
	s_and_saveexec_b32 s41, s4
	s_cbranch_execnz .LBB43_44
.LBB43_28:                              ;   in Loop: Header=BB43_23 Depth=1
	s_or_b32 exec_lo, exec_lo, s41
	s_and_saveexec_b32 s41, s5
	s_cbranch_execnz .LBB43_45
.LBB43_29:                              ;   in Loop: Header=BB43_23 Depth=1
	s_or_b32 exec_lo, exec_lo, s41
	s_and_saveexec_b32 s41, s6
	s_cbranch_execnz .LBB43_46
.LBB43_30:                              ;   in Loop: Header=BB43_23 Depth=1
	s_or_b32 exec_lo, exec_lo, s41
	s_and_saveexec_b32 s41, s7
	s_cbranch_execnz .LBB43_47
.LBB43_31:                              ;   in Loop: Header=BB43_23 Depth=1
	s_or_b32 exec_lo, exec_lo, s41
	s_and_saveexec_b32 s41, s8
	s_cbranch_execnz .LBB43_48
.LBB43_32:                              ;   in Loop: Header=BB43_23 Depth=1
	s_or_b32 exec_lo, exec_lo, s41
	s_and_saveexec_b32 s41, s9
	s_cbranch_execnz .LBB43_49
.LBB43_33:                              ;   in Loop: Header=BB43_23 Depth=1
	s_or_b32 exec_lo, exec_lo, s41
	s_and_saveexec_b32 s41, s10
	s_cbranch_execnz .LBB43_50
.LBB43_34:                              ;   in Loop: Header=BB43_23 Depth=1
	s_or_b32 exec_lo, exec_lo, s41
	s_and_saveexec_b32 s41, s11
	s_cbranch_execnz .LBB43_51
.LBB43_35:                              ;   in Loop: Header=BB43_23 Depth=1
	s_or_b32 exec_lo, exec_lo, s41
	s_and_saveexec_b32 s41, s12
	s_cbranch_execnz .LBB43_52
.LBB43_36:                              ;   in Loop: Header=BB43_23 Depth=1
	s_or_b32 exec_lo, exec_lo, s41
	s_and_saveexec_b32 s41, s13
	s_cbranch_execnz .LBB43_53
.LBB43_37:                              ;   in Loop: Header=BB43_23 Depth=1
	s_or_b32 exec_lo, exec_lo, s41
	s_and_saveexec_b32 s41, s14
	s_cbranch_execnz .LBB43_54
.LBB43_38:                              ;   in Loop: Header=BB43_23 Depth=1
	s_or_b32 exec_lo, exec_lo, s41
	s_and_saveexec_b32 s41, s15
	s_cbranch_execnz .LBB43_55
.LBB43_39:                              ;   in Loop: Header=BB43_23 Depth=1
	s_or_b32 exec_lo, exec_lo, s41
	s_and_saveexec_b32 s15, vcc_lo
	s_cbranch_execz .LBB43_22
	s_branch .LBB43_56
.LBB43_40:                              ;   in Loop: Header=BB43_23 Depth=1
	v_mov_b32_e32 v9, s17
	ds_read_b32 v9, v9
	s_waitcnt lgkmcnt(0)
	v_add_nc_u32_e32 v6, v9, v6
	s_or_b32 exec_lo, exec_lo, s41
	s_and_saveexec_b32 s41, s1
	s_cbranch_execz .LBB43_25
.LBB43_41:                              ;   in Loop: Header=BB43_23 Depth=1
	v_mov_b32_e32 v9, s19
	ds_read_b32 v9, v9
	s_waitcnt lgkmcnt(0)
	v_add_nc_u32_e32 v6, v9, v6
	s_or_b32 exec_lo, exec_lo, s41
	s_and_saveexec_b32 s41, s2
	s_cbranch_execz .LBB43_26
.LBB43_42:                              ;   in Loop: Header=BB43_23 Depth=1
	v_mov_b32_e32 v9, s20
	ds_read_b32 v9, v9
	s_waitcnt lgkmcnt(0)
	v_add_nc_u32_e32 v6, v9, v6
	s_or_b32 exec_lo, exec_lo, s41
	s_and_saveexec_b32 s41, s3
	s_cbranch_execz .LBB43_27
.LBB43_43:                              ;   in Loop: Header=BB43_23 Depth=1
	v_mov_b32_e32 v9, s21
	ds_read_b32 v9, v9
	s_waitcnt lgkmcnt(0)
	v_add_nc_u32_e32 v6, v9, v6
	s_or_b32 exec_lo, exec_lo, s41
	s_and_saveexec_b32 s41, s4
	s_cbranch_execz .LBB43_28
.LBB43_44:                              ;   in Loop: Header=BB43_23 Depth=1
	v_mov_b32_e32 v9, s22
	ds_read_b32 v9, v9
	s_waitcnt lgkmcnt(0)
	v_add_nc_u32_e32 v6, v9, v6
	s_or_b32 exec_lo, exec_lo, s41
	s_and_saveexec_b32 s41, s5
	s_cbranch_execz .LBB43_29
.LBB43_45:                              ;   in Loop: Header=BB43_23 Depth=1
	v_mov_b32_e32 v9, s23
	ds_read_b32 v9, v9
	s_waitcnt lgkmcnt(0)
	v_add_nc_u32_e32 v6, v9, v6
	s_or_b32 exec_lo, exec_lo, s41
	s_and_saveexec_b32 s41, s6
	s_cbranch_execz .LBB43_30
.LBB43_46:                              ;   in Loop: Header=BB43_23 Depth=1
	v_mov_b32_e32 v9, s29
	ds_read_b32 v9, v9
	s_waitcnt lgkmcnt(0)
	v_add_nc_u32_e32 v6, v9, v6
	s_or_b32 exec_lo, exec_lo, s41
	s_and_saveexec_b32 s41, s7
	s_cbranch_execz .LBB43_31
.LBB43_47:                              ;   in Loop: Header=BB43_23 Depth=1
	v_mov_b32_e32 v9, s31
	ds_read_b32 v9, v9
	s_waitcnt lgkmcnt(0)
	v_add_nc_u32_e32 v6, v9, v6
	s_or_b32 exec_lo, exec_lo, s41
	s_and_saveexec_b32 s41, s8
	s_cbranch_execz .LBB43_32
.LBB43_48:                              ;   in Loop: Header=BB43_23 Depth=1
	v_mov_b32_e32 v9, s33
	ds_read_b32 v9, v9
	s_waitcnt lgkmcnt(0)
	v_add_nc_u32_e32 v6, v9, v6
	s_or_b32 exec_lo, exec_lo, s41
	s_and_saveexec_b32 s41, s9
	s_cbranch_execz .LBB43_33
.LBB43_49:                              ;   in Loop: Header=BB43_23 Depth=1
	v_mov_b32_e32 v9, s34
	ds_read_b32 v9, v9
	s_waitcnt lgkmcnt(0)
	v_add_nc_u32_e32 v6, v9, v6
	s_or_b32 exec_lo, exec_lo, s41
	s_and_saveexec_b32 s41, s10
	s_cbranch_execz .LBB43_34
.LBB43_50:                              ;   in Loop: Header=BB43_23 Depth=1
	v_mov_b32_e32 v9, s35
	ds_read_b32 v9, v9
	s_waitcnt lgkmcnt(0)
	v_add_nc_u32_e32 v6, v9, v6
	s_or_b32 exec_lo, exec_lo, s41
	s_and_saveexec_b32 s41, s11
	s_cbranch_execz .LBB43_35
.LBB43_51:                              ;   in Loop: Header=BB43_23 Depth=1
	v_mov_b32_e32 v9, s37
	ds_read_b32 v9, v9
	s_waitcnt lgkmcnt(0)
	v_add_nc_u32_e32 v6, v9, v6
	s_or_b32 exec_lo, exec_lo, s41
	s_and_saveexec_b32 s41, s12
	s_cbranch_execz .LBB43_36
.LBB43_52:                              ;   in Loop: Header=BB43_23 Depth=1
	v_mov_b32_e32 v9, s38
	ds_read_b32 v9, v9
	s_waitcnt lgkmcnt(0)
	v_add_nc_u32_e32 v6, v9, v6
	s_or_b32 exec_lo, exec_lo, s41
	s_and_saveexec_b32 s41, s13
	s_cbranch_execz .LBB43_37
.LBB43_53:                              ;   in Loop: Header=BB43_23 Depth=1
	v_mov_b32_e32 v9, s39
	ds_read_b32 v9, v9
	s_waitcnt lgkmcnt(0)
	v_add_nc_u32_e32 v6, v9, v6
	s_or_b32 exec_lo, exec_lo, s41
	s_and_saveexec_b32 s41, s14
	s_cbranch_execz .LBB43_38
.LBB43_54:                              ;   in Loop: Header=BB43_23 Depth=1
	v_mov_b32_e32 v9, s40
	ds_read_b32 v9, v9
	s_waitcnt lgkmcnt(0)
	v_add_nc_u32_e32 v6, v9, v6
	s_or_b32 exec_lo, exec_lo, s41
	s_and_saveexec_b32 s41, s15
	s_cbranch_execz .LBB43_39
.LBB43_55:                              ;   in Loop: Header=BB43_23 Depth=1
	v_lshlrev_b32_e32 v9, 2, v1
	v_lshlrev_b32_e32 v10, 2, v6
	v_add_nc_u32_e32 v9, 0, v9
	v_add3_u32 v9, v9, v10, -4
	ds_write_b32 v9, v5
	s_or_b32 exec_lo, exec_lo, s41
	s_and_saveexec_b32 s15, vcc_lo
	s_cbranch_execz .LBB43_22
.LBB43_56:                              ;   in Loop: Header=BB43_23 Depth=1
	v_mov_b32_e32 v5, s36
	ds_write_b32 v5, v6
	s_branch .LBB43_22
.LBB43_57:                              ;   in Loop: Header=BB43_58 Depth=1
	s_inst_prefetch 0x2
	s_or_b32 exec_lo, exec_lo, s4
	v_add_co_u32 v1, vcc_lo, 0x400, v1
	v_add_co_ci_u32_e64 v2, null, 0, v2, vcc_lo
	v_cmp_le_i64_e32 vcc_lo, s[0:1], v[1:2]
	s_or_b32 s3, vcc_lo, s3
	s_andn2_b32 exec_lo, exec_lo, s3
	s_cbranch_execz .LBB43_20
.LBB43_58:                              ; =>This Loop Header: Depth=1
                                        ;     Child Loop BB43_61 Depth 2
	v_lshlrev_b64 v[3:4], 2, v[1:2]
	s_mov_b32 s4, 0
                                        ; implicit-def: $sgpr5
	v_add_co_u32 v3, vcc_lo, s14, v3
	v_add_co_ci_u32_e64 v4, null, s15, v4, vcc_lo
	global_load_dword v3, v[3:4], off
	s_waitcnt vmcnt(0)
	v_subrev_nc_u32_e32 v3, s19, v3
	v_mul_lo_u32 v4, 0x89, v3
	v_and_b32_e32 v4, 0x7fff, v4
	s_inst_prefetch 0x1
	s_branch .LBB43_61
	.p2align	6
.LBB43_59:                              ;   in Loop: Header=BB43_61 Depth=2
	s_or_b32 exec_lo, exec_lo, s7
	s_andn2_b32 s5, s5, exec_lo
	s_and_b32 s7, s8, exec_lo
	s_or_b32 s5, s5, s7
.LBB43_60:                              ;   in Loop: Header=BB43_61 Depth=2
	s_or_b32 exec_lo, exec_lo, s6
	s_xor_b32 s6, s5, -1
	s_and_b32 s6, exec_lo, s6
	s_or_b32 s4, s6, s4
	s_andn2_b32 exec_lo, exec_lo, s4
	s_cbranch_execz .LBB43_57
.LBB43_61:                              ;   Parent Loop BB43_58 Depth=1
                                        ; =>  This Inner Loop Header: Depth=2
	v_lshl_add_u32 v5, v4, 2, 0
	s_andn2_b32 s5, s5, exec_lo
	s_mov_b32 s6, exec_lo
	ds_read_b32 v6, v5
	s_waitcnt lgkmcnt(0)
	v_cmpx_ne_u32_e64 v6, v3
	s_cbranch_execz .LBB43_60
; %bb.62:                               ;   in Loop: Header=BB43_61 Depth=2
	s_mov_b32 s7, exec_lo
	v_cmpx_ne_u32_e64 s30, v6
	s_xor_b32 s7, exec_lo, s7
; %bb.63:                               ;   in Loop: Header=BB43_61 Depth=2
	v_add_nc_u32_e32 v4, 1, v4
                                        ; implicit-def: $vgpr5
	v_and_b32_e32 v4, 0x7fff, v4
; %bb.64:                               ;   in Loop: Header=BB43_61 Depth=2
	s_or_saveexec_b32 s7, s7
	s_mov_b32 s8, -1
	s_xor_b32 exec_lo, exec_lo, s7
	s_cbranch_execz .LBB43_59
; %bb.65:                               ;   in Loop: Header=BB43_61 Depth=2
	v_mov_b32_e32 v6, s30
	ds_cmpst_rtn_b32 v5, v5, v6, v3
	s_waitcnt lgkmcnt(0)
	v_cmp_ne_u32_e32 vcc_lo, s30, v5
	s_orn2_b32 s8, vcc_lo, exec_lo
	s_branch .LBB43_59
.LBB43_66:
	s_or_b32 exec_lo, exec_lo, s16
	s_ashr_i32 s29, s28, 31
	s_mov_b32 s4, exec_lo
	s_lshl_b64 s[0:1], s[28:29], 3
	s_add_u32 s0, s24, s0
	s_addc_u32 s1, s25, s1
	s_load_dwordx4 s[0:3], s[0:1], 0x0
	s_waitcnt lgkmcnt(0)
	s_sub_i32 s3, s2, s0
	v_cmpx_gt_i32_e64 s3, v0
	s_cbranch_execz .LBB43_76
; %bb.67:
	s_sub_u32 s4, s0, s18
	s_subb_u32 s5, s1, 0
	s_sub_i32 s0, s0, s2
	s_and_b32 s1, s3, 7
	s_cmp_lt_u32 s0, -7
	s_mov_b32 s8, 0
	s_cselect_b32 s2, -1, 0
	s_and_b32 s6, s3, -8
	s_cmp_lg_u32 s1, 0
	s_cselect_b32 s7, -1, 0
	s_branch .LBB43_69
.LBB43_68:                              ;   in Loop: Header=BB43_69 Depth=1
	v_lshlrev_b64 v[1:2], 2, v[1:2]
	v_add_nc_u32_e32 v0, 0x400, v0
	s_waitcnt lgkmcnt(0)
	v_add_nc_u32_e32 v3, s18, v3
	v_cmp_le_i32_e32 vcc_lo, s3, v0
	v_add_co_u32 v1, s0, s26, v1
	v_add_co_ci_u32_e64 v2, null, s27, v2, s0
	s_or_b32 s8, vcc_lo, s8
	global_store_dword v[1:2], v3, off
	s_andn2_b32 exec_lo, exec_lo, s8
	s_cbranch_execz .LBB43_76
.LBB43_69:                              ; =>This Loop Header: Depth=1
                                        ;     Child Loop BB43_71 Depth 2
                                        ;     Child Loop BB43_75 Depth 2
	v_lshl_add_u32 v1, v0, 2, 0
	s_andn2_b32 vcc_lo, exec_lo, s2
	s_mov_b32 s0, 0
	ds_read_b32 v3, v1
	v_mov_b32_e32 v1, s4
	v_mov_b32_e32 v2, s5
	s_cbranch_vccnz .LBB43_73
; %bb.70:                               ;   in Loop: Header=BB43_69 Depth=1
	v_mov_b32_e32 v1, s4
	v_mov_b32_e32 v2, s5
	s_mov_b32 s9, 0
	s_mov_b32 s10, 0
.LBB43_71:                              ;   Parent Loop BB43_69 Depth=1
                                        ; =>  This Inner Loop Header: Depth=2
	v_mov_b32_e32 v10, s10
	s_add_i32 s9, s9, 8
	s_add_i32 s10, s10, 32
	s_cmp_eq_u32 s6, s9
	ds_read2_b32 v[4:5], v10 offset1:1
	ds_read2_b32 v[6:7], v10 offset0:2 offset1:3
	ds_read2_b32 v[8:9], v10 offset0:4 offset1:5
	;; [unrolled: 1-line block ×3, first 2 shown]
	s_waitcnt lgkmcnt(3)
	v_cmp_gt_i32_e32 vcc_lo, v3, v4
	v_cndmask_b32_e64 v4, 0, 1, vcc_lo
	v_cmp_gt_i32_e32 vcc_lo, v3, v5
	v_cndmask_b32_e64 v5, 0, 1, vcc_lo
	s_waitcnt lgkmcnt(2)
	v_cmp_gt_i32_e32 vcc_lo, v3, v6
	v_cndmask_b32_e64 v6, 0, 1, vcc_lo
	v_cmp_gt_i32_e32 vcc_lo, v3, v7
	v_cndmask_b32_e64 v7, 0, 1, vcc_lo
	s_waitcnt lgkmcnt(1)
	v_cmp_gt_i32_e32 vcc_lo, v3, v8
	v_cndmask_b32_e64 v8, 0, 1, vcc_lo
	v_add_co_u32 v1, vcc_lo, v1, v4
	v_add_co_ci_u32_e64 v2, null, 0, v2, vcc_lo
	v_cmp_gt_i32_e32 vcc_lo, v3, v9
	v_add_co_u32 v1, s0, v1, v5
	v_add_co_ci_u32_e64 v2, null, 0, v2, s0
	v_cndmask_b32_e64 v4, 0, 1, vcc_lo
	v_add_co_u32 v1, vcc_lo, v1, v6
	v_add_co_ci_u32_e64 v2, null, 0, v2, vcc_lo
	s_waitcnt lgkmcnt(0)
	v_cmp_gt_i32_e32 vcc_lo, v3, v10
	v_add_co_u32 v1, s0, v1, v7
	v_add_co_ci_u32_e64 v2, null, 0, v2, s0
	v_cndmask_b32_e64 v5, 0, 1, vcc_lo
	v_add_co_u32 v1, vcc_lo, v1, v8
	v_add_co_ci_u32_e64 v2, null, 0, v2, vcc_lo
	v_cmp_gt_i32_e32 vcc_lo, v3, v11
	v_add_co_u32 v1, s0, v1, v4
	v_add_co_ci_u32_e64 v2, null, 0, v2, s0
	v_cndmask_b32_e64 v4, 0, 1, vcc_lo
	v_add_co_u32 v1, vcc_lo, v1, v5
	v_add_co_ci_u32_e64 v2, null, 0, v2, vcc_lo
	v_add_co_u32 v1, vcc_lo, v1, v4
	v_add_co_ci_u32_e64 v2, null, 0, v2, vcc_lo
	s_cbranch_scc0 .LBB43_71
; %bb.72:                               ;   in Loop: Header=BB43_69 Depth=1
	s_mov_b32 s0, s6
.LBB43_73:                              ;   in Loop: Header=BB43_69 Depth=1
	s_andn2_b32 vcc_lo, exec_lo, s7
	s_cbranch_vccnz .LBB43_68
; %bb.74:                               ;   in Loop: Header=BB43_69 Depth=1
	s_lshl_b32 s0, s0, 2
	s_mov_b32 s9, s1
	s_add_i32 s0, s0, 0
.LBB43_75:                              ;   Parent Loop BB43_69 Depth=1
                                        ; =>  This Inner Loop Header: Depth=2
	v_mov_b32_e32 v4, s0
	s_add_i32 s9, s9, -1
	s_add_i32 s0, s0, 4
	s_cmp_lg_u32 s9, 0
	ds_read_b32 v4, v4
	s_waitcnt lgkmcnt(0)
	v_cmp_gt_i32_e32 vcc_lo, v3, v4
	v_cndmask_b32_e64 v4, 0, 1, vcc_lo
	v_add_co_u32 v1, vcc_lo, v1, v4
	v_add_co_ci_u32_e64 v2, null, 0, v2, vcc_lo
	s_cbranch_scc1 .LBB43_75
	s_branch .LBB43_68
.LBB43_76:
	s_endpgm
	.section	.rodata,"a",@progbits
	.p2align	6, 0x0
	.amdhsa_kernel _ZN9rocsparseL35csrgemm_symbolic_fill_block_per_rowILj1024ELj64ELj32768ELj137ELj64EliEEvT5_PKS1_S3_PKT4_S3_S6_S3_S6_S3_S6_PS1_21rocsparse_index_base_S8_S8_S8_bb
		.amdhsa_group_segment_fixed_size 0
		.amdhsa_private_segment_fixed_size 0
		.amdhsa_kernarg_size 108
		.amdhsa_user_sgpr_count 6
		.amdhsa_user_sgpr_private_segment_buffer 1
		.amdhsa_user_sgpr_dispatch_ptr 0
		.amdhsa_user_sgpr_queue_ptr 0
		.amdhsa_user_sgpr_kernarg_segment_ptr 1
		.amdhsa_user_sgpr_dispatch_id 0
		.amdhsa_user_sgpr_flat_scratch_init 0
		.amdhsa_user_sgpr_private_segment_size 0
		.amdhsa_wavefront_size32 1
		.amdhsa_uses_dynamic_stack 0
		.amdhsa_system_sgpr_private_segment_wavefront_offset 0
		.amdhsa_system_sgpr_workgroup_id_x 1
		.amdhsa_system_sgpr_workgroup_id_y 0
		.amdhsa_system_sgpr_workgroup_id_z 0
		.amdhsa_system_sgpr_workgroup_info 0
		.amdhsa_system_vgpr_workitem_id 0
		.amdhsa_next_free_vgpr 16
		.amdhsa_next_free_sgpr 42
		.amdhsa_reserve_vcc 1
		.amdhsa_reserve_flat_scratch 0
		.amdhsa_float_round_mode_32 0
		.amdhsa_float_round_mode_16_64 0
		.amdhsa_float_denorm_mode_32 3
		.amdhsa_float_denorm_mode_16_64 3
		.amdhsa_dx10_clamp 1
		.amdhsa_ieee_mode 1
		.amdhsa_fp16_overflow 0
		.amdhsa_workgroup_processor_mode 1
		.amdhsa_memory_ordered 1
		.amdhsa_forward_progress 1
		.amdhsa_shared_vgpr_count 0
		.amdhsa_exception_fp_ieee_invalid_op 0
		.amdhsa_exception_fp_denorm_src 0
		.amdhsa_exception_fp_ieee_div_zero 0
		.amdhsa_exception_fp_ieee_overflow 0
		.amdhsa_exception_fp_ieee_underflow 0
		.amdhsa_exception_fp_ieee_inexact 0
		.amdhsa_exception_int_div_zero 0
	.end_amdhsa_kernel
	.section	.text._ZN9rocsparseL35csrgemm_symbolic_fill_block_per_rowILj1024ELj64ELj32768ELj137ELj64EliEEvT5_PKS1_S3_PKT4_S3_S6_S3_S6_S3_S6_PS1_21rocsparse_index_base_S8_S8_S8_bb,"axG",@progbits,_ZN9rocsparseL35csrgemm_symbolic_fill_block_per_rowILj1024ELj64ELj32768ELj137ELj64EliEEvT5_PKS1_S3_PKT4_S3_S6_S3_S6_S3_S6_PS1_21rocsparse_index_base_S8_S8_S8_bb,comdat
.Lfunc_end43:
	.size	_ZN9rocsparseL35csrgemm_symbolic_fill_block_per_rowILj1024ELj64ELj32768ELj137ELj64EliEEvT5_PKS1_S3_PKT4_S3_S6_S3_S6_S3_S6_PS1_21rocsparse_index_base_S8_S8_S8_bb, .Lfunc_end43-_ZN9rocsparseL35csrgemm_symbolic_fill_block_per_rowILj1024ELj64ELj32768ELj137ELj64EliEEvT5_PKS1_S3_PKT4_S3_S6_S3_S6_S3_S6_PS1_21rocsparse_index_base_S8_S8_S8_bb
                                        ; -- End function
	.set _ZN9rocsparseL35csrgemm_symbolic_fill_block_per_rowILj1024ELj64ELj32768ELj137ELj64EliEEvT5_PKS1_S3_PKT4_S3_S6_S3_S6_S3_S6_PS1_21rocsparse_index_base_S8_S8_S8_bb.num_vgpr, 16
	.set _ZN9rocsparseL35csrgemm_symbolic_fill_block_per_rowILj1024ELj64ELj32768ELj137ELj64EliEEvT5_PKS1_S3_PKT4_S3_S6_S3_S6_S3_S6_PS1_21rocsparse_index_base_S8_S8_S8_bb.num_agpr, 0
	.set _ZN9rocsparseL35csrgemm_symbolic_fill_block_per_rowILj1024ELj64ELj32768ELj137ELj64EliEEvT5_PKS1_S3_PKT4_S3_S6_S3_S6_S3_S6_PS1_21rocsparse_index_base_S8_S8_S8_bb.numbered_sgpr, 42
	.set _ZN9rocsparseL35csrgemm_symbolic_fill_block_per_rowILj1024ELj64ELj32768ELj137ELj64EliEEvT5_PKS1_S3_PKT4_S3_S6_S3_S6_S3_S6_PS1_21rocsparse_index_base_S8_S8_S8_bb.num_named_barrier, 0
	.set _ZN9rocsparseL35csrgemm_symbolic_fill_block_per_rowILj1024ELj64ELj32768ELj137ELj64EliEEvT5_PKS1_S3_PKT4_S3_S6_S3_S6_S3_S6_PS1_21rocsparse_index_base_S8_S8_S8_bb.private_seg_size, 0
	.set _ZN9rocsparseL35csrgemm_symbolic_fill_block_per_rowILj1024ELj64ELj32768ELj137ELj64EliEEvT5_PKS1_S3_PKT4_S3_S6_S3_S6_S3_S6_PS1_21rocsparse_index_base_S8_S8_S8_bb.uses_vcc, 1
	.set _ZN9rocsparseL35csrgemm_symbolic_fill_block_per_rowILj1024ELj64ELj32768ELj137ELj64EliEEvT5_PKS1_S3_PKT4_S3_S6_S3_S6_S3_S6_PS1_21rocsparse_index_base_S8_S8_S8_bb.uses_flat_scratch, 0
	.set _ZN9rocsparseL35csrgemm_symbolic_fill_block_per_rowILj1024ELj64ELj32768ELj137ELj64EliEEvT5_PKS1_S3_PKT4_S3_S6_S3_S6_S3_S6_PS1_21rocsparse_index_base_S8_S8_S8_bb.has_dyn_sized_stack, 0
	.set _ZN9rocsparseL35csrgemm_symbolic_fill_block_per_rowILj1024ELj64ELj32768ELj137ELj64EliEEvT5_PKS1_S3_PKT4_S3_S6_S3_S6_S3_S6_PS1_21rocsparse_index_base_S8_S8_S8_bb.has_recursion, 0
	.set _ZN9rocsparseL35csrgemm_symbolic_fill_block_per_rowILj1024ELj64ELj32768ELj137ELj64EliEEvT5_PKS1_S3_PKT4_S3_S6_S3_S6_S3_S6_PS1_21rocsparse_index_base_S8_S8_S8_bb.has_indirect_call, 0
	.section	.AMDGPU.csdata,"",@progbits
; Kernel info:
; codeLenInByte = 3052
; TotalNumSgprs: 44
; NumVgprs: 16
; ScratchSize: 0
; MemoryBound: 0
; FloatMode: 240
; IeeeMode: 1
; LDSByteSize: 0 bytes/workgroup (compile time only)
; SGPRBlocks: 0
; VGPRBlocks: 1
; NumSGPRsForWavesPerEU: 44
; NumVGPRsForWavesPerEU: 16
; Occupancy: 16
; WaveLimiterHint : 1
; COMPUTE_PGM_RSRC2:SCRATCH_EN: 0
; COMPUTE_PGM_RSRC2:USER_SGPR: 6
; COMPUTE_PGM_RSRC2:TRAP_HANDLER: 0
; COMPUTE_PGM_RSRC2:TGID_X_EN: 1
; COMPUTE_PGM_RSRC2:TGID_Y_EN: 0
; COMPUTE_PGM_RSRC2:TGID_Z_EN: 0
; COMPUTE_PGM_RSRC2:TIDIG_COMP_CNT: 0
	.section	.text._ZN9rocsparseL45csrgemm_symbolic_fill_block_per_row_multipassILj512ELj16ELj2048ELj32EliEEvT4_PKS1_S3_PKT3_S3_S6_S3_S6_S3_S6_PS1_PS4_21rocsparse_index_base_S9_S9_S9_bb,"axG",@progbits,_ZN9rocsparseL45csrgemm_symbolic_fill_block_per_row_multipassILj512ELj16ELj2048ELj32EliEEvT4_PKS1_S3_PKT3_S3_S6_S3_S6_S3_S6_PS1_PS4_21rocsparse_index_base_S9_S9_S9_bb,comdat
	.globl	_ZN9rocsparseL45csrgemm_symbolic_fill_block_per_row_multipassILj512ELj16ELj2048ELj32EliEEvT4_PKS1_S3_PKT3_S3_S6_S3_S6_S3_S6_PS1_PS4_21rocsparse_index_base_S9_S9_S9_bb ; -- Begin function _ZN9rocsparseL45csrgemm_symbolic_fill_block_per_row_multipassILj512ELj16ELj2048ELj32EliEEvT4_PKS1_S3_PKT3_S3_S6_S3_S6_S3_S6_PS1_PS4_21rocsparse_index_base_S9_S9_S9_bb
	.p2align	8
	.type	_ZN9rocsparseL45csrgemm_symbolic_fill_block_per_row_multipassILj512ELj16ELj2048ELj32EliEEvT4_PKS1_S3_PKT3_S3_S6_S3_S6_S3_S6_PS1_PS4_21rocsparse_index_base_S9_S9_S9_bb,@function
_ZN9rocsparseL45csrgemm_symbolic_fill_block_per_row_multipassILj512ELj16ELj2048ELj32EliEEvT4_PKS1_S3_PKT3_S3_S6_S3_S6_S3_S6_PS1_PS4_21rocsparse_index_base_S9_S9_S9_bb: ; @_ZN9rocsparseL45csrgemm_symbolic_fill_block_per_row_multipassILj512ELj16ELj2048ELj32EliEEvT4_PKS1_S3_PKT3_S3_S6_S3_S6_S3_S6_PS1_PS4_21rocsparse_index_base_S9_S9_S9_bb
; %bb.0:
	s_clause 0x2
	s_load_dwordx4 s[12:15], s[4:5], 0x8
	s_load_dword s8, s[4:5], 0x70
	s_load_dwordx2 s[0:1], s[4:5], 0x18
	s_mov_b32 s3, 0
	s_mov_b64 s[22:23], 0
	s_waitcnt lgkmcnt(0)
	s_load_dword s2, s[12:13], 0x0
	s_load_dwordx4 s[44:47], s[4:5], 0x60
	s_bitcmp1_b32 s8, 0
	s_cselect_b32 s18, -1, 0
	s_waitcnt lgkmcnt(0)
	s_add_i32 s2, s2, s6
	s_lshl_b64 s[2:3], s[2:3], 2
	s_add_u32 s2, s14, s2
	s_addc_u32 s3, s15, s3
	s_bitcmp0_b32 s8, 0
	s_load_dword s6, s[2:3], 0x0
	s_mov_b64 s[2:3], 0
	s_cbranch_scc0 .LBB44_3
; %bb.1:
	s_andn2_b32 vcc_lo, exec_lo, s18
	s_cbranch_vccz .LBB44_4
.LBB44_2:
	s_load_dword s33, s[4:5], 0x0
	s_waitcnt lgkmcnt(0)
	s_cmp_lt_i32 s33, 1
	s_cbranch_scc0 .LBB44_5
	s_branch .LBB44_64
.LBB44_3:
	s_waitcnt lgkmcnt(0)
	s_ashr_i32 s7, s6, 31
	s_lshl_b64 s[2:3], s[6:7], 3
	s_add_u32 s2, s0, s2
	s_addc_u32 s3, s1, s3
	s_load_dwordx2 s[2:3], s[2:3], 0x0
	s_waitcnt lgkmcnt(0)
	s_sub_u32 s2, s2, s44
	s_subb_u32 s3, s3, 0
	s_andn2_b32 vcc_lo, exec_lo, s18
	s_cbranch_vccnz .LBB44_2
.LBB44_4:
	s_waitcnt lgkmcnt(0)
	s_ashr_i32 s7, s6, 31
	s_lshl_b64 s[10:11], s[6:7], 3
	s_add_u32 s0, s0, s10
	s_addc_u32 s1, s1, s11
	s_load_dwordx2 s[0:1], s[0:1], 0x8
	s_waitcnt lgkmcnt(0)
	s_sub_u32 s22, s0, s44
	s_subb_u32 s23, s1, 0
	s_load_dword s33, s[4:5], 0x0
	s_waitcnt lgkmcnt(0)
	s_cmp_lt_i32 s33, 1
	s_cbranch_scc1 .LBB44_64
.LBB44_5:
	s_clause 0x1
	s_load_dwordx8 s[24:31], s[4:5], 0x40
	s_load_dwordx8 s[36:43], s[4:5], 0x20
	v_mbcnt_lo_u32_b32 v3, -1, 0
	s_bitcmp1_b32 s8, 8
	v_lshrrev_b32_e32 v1, 4, v0
	s_cselect_b32 s35, -1, 0
	s_ashr_i32 s7, s6, 31
	v_xor_b32_e32 v5, 8, v3
	s_lshl_b64 s[4:5], s[6:7], 3
	v_sub_co_u32 v21, s1, v0, s47
	v_xor_b32_e32 v6, 4, v3
	v_cmp_gt_i32_e32 vcc_lo, 32, v5
	v_sub_co_ci_u32_e64 v22, null, 0, 0, s1
	v_add_co_u32 v1, s1, s2, v1
	v_add_co_ci_u32_e64 v2, null, s3, 0, s1
	v_xor_b32_e32 v7, 2, v3
	s_waitcnt lgkmcnt(0)
	s_add_u32 s6, s26, s4
	s_addc_u32 s7, s27, s5
	v_cndmask_b32_e32 v5, v3, v5, vcc_lo
	s_load_dwordx2 s[2:3], s[6:7], 0x0
	v_cmp_gt_i32_e32 vcc_lo, 32, v6
	v_xor_b32_e32 v8, 1, v3
	v_lshrrev_b32_e32 v4, 3, v0
	v_xor_b32_e32 v9, 31, v3
	v_and_b32_e32 v19, 15, v0
	v_cndmask_b32_e32 v6, v3, v6, vcc_lo
	v_cmp_gt_i32_e32 vcc_lo, 32, v7
	v_and_b32_e32 v28, 60, v4
	v_cmp_eq_u32_e64 s0, 0, v0
	v_mov_b32_e32 v20, 0
	v_cmp_eq_u32_e64 s1, 15, v19
	v_cndmask_b32_e32 v7, v3, v7, vcc_lo
	v_cmp_gt_i32_e32 vcc_lo, 32, v8
	v_lshlrev_b32_e32 v23, 2, v5
	v_lshlrev_b32_e32 v24, 2, v6
	v_lshrrev_b32_e64 v27, v9, -1
	v_lshlrev_b32_e32 v25, 2, v7
	v_cndmask_b32_e32 v3, v3, v8, vcc_lo
	v_cmp_gt_i64_e32 vcc_lo, s[22:23], v[1:2]
	s_waitcnt lgkmcnt(0)
	s_sub_u32 s20, s2, s46
	s_subb_u32 s21, s3, 0
	s_add_u32 s26, s42, s4
	v_lshlrev_b32_e32 v26, 2, v3
	v_mov_b32_e32 v3, s20
	s_addc_u32 s27, s43, s5
	v_cmp_eq_u32_e64 s2, 0x1ff, v0
	v_cmp_gt_u32_e64 s3, 32, v0
	v_cmp_gt_u32_e64 s4, 64, v0
	;; [unrolled: 1-line block ×15, first 2 shown]
	v_mov_b32_e32 v31, 0x800
	v_mov_b32_e32 v4, s21
	;; [unrolled: 1-line block ×4, first 2 shown]
	s_mov_b32 s34, s45
	s_mov_b32 s42, s47
	s_and_b32 s43, s18, vcc_lo
	s_mov_b32 s48, -1
	s_branch .LBB44_7
.LBB44_6:                               ;   in Loop: Header=BB44_7 Depth=1
	s_or_b32 exec_lo, exec_lo, s19
	ds_read_b32 v30, v20 offset:10240
	s_waitcnt lgkmcnt(0)
	s_barrier
	buffer_gl0_inv
	v_cmp_le_i32_e32 vcc_lo, s33, v30
	v_add_nc_u32_e32 v31, 0x800, v30
	s_cbranch_vccnz .LBB44_64
.LBB44_7:                               ; =>This Loop Header: Depth=1
                                        ;     Child Loop BB44_16 Depth 2
                                        ;       Child Loop BB44_22 Depth 3
                                        ;     Child Loop BB44_43 Depth 2
                                        ;     Child Loop BB44_55 Depth 2
	;; [unrolled: 1-line block ×3, first 2 shown]
	s_and_saveexec_b32 s18, s48
	s_cbranch_execnz .LBB44_34
; %bb.8:                                ;   in Loop: Header=BB44_7 Depth=1
	s_or_b32 exec_lo, exec_lo, s18
	s_and_saveexec_b32 s18, s48
	s_cbranch_execnz .LBB44_35
.LBB44_9:                               ;   in Loop: Header=BB44_7 Depth=1
	s_or_b32 exec_lo, exec_lo, s18
	s_and_saveexec_b32 s18, s48
	s_cbranch_execnz .LBB44_36
.LBB44_10:                              ;   in Loop: Header=BB44_7 Depth=1
	s_or_b32 exec_lo, exec_lo, s18
	s_and_saveexec_b32 s18, s48
	s_cbranch_execnz .LBB44_37
.LBB44_11:                              ;   in Loop: Header=BB44_7 Depth=1
	s_or_b32 exec_lo, exec_lo, s18
	s_and_saveexec_b32 s18, s0
.LBB44_12:                              ;   in Loop: Header=BB44_7 Depth=1
	v_mov_b32_e32 v5, s33
	ds_write_b32 v20, v5 offset:10240
.LBB44_13:                              ;   in Loop: Header=BB44_7 Depth=1
	s_or_b32 exec_lo, exec_lo, s18
	v_mov_b32_e32 v32, s33
	s_waitcnt lgkmcnt(0)
	s_barrier
	buffer_gl0_inv
	s_and_saveexec_b32 s21, s43
	s_cbranch_execz .LBB44_39
; %bb.14:                               ;   in Loop: Header=BB44_7 Depth=1
	v_mov_b32_e32 v6, v2
	v_cmp_ne_u32_e64 s18, 0, v30
	v_mov_b32_e32 v32, s33
	v_mov_b32_e32 v5, v1
	s_mov_b32 s49, 0
	s_branch .LBB44_16
.LBB44_15:                              ;   in Loop: Header=BB44_16 Depth=2
	s_or_b32 exec_lo, exec_lo, s20
	v_add_co_u32 v5, vcc_lo, v5, 32
	v_add_co_ci_u32_e64 v6, null, 0, v6, vcc_lo
	v_cmp_le_i64_e32 vcc_lo, s[22:23], v[5:6]
	s_or_b32 s49, vcc_lo, s49
	s_andn2_b32 exec_lo, exec_lo, s49
	s_cbranch_execz .LBB44_38
.LBB44_16:                              ;   Parent Loop BB44_7 Depth=1
                                        ; =>  This Loop Header: Depth=2
                                        ;       Child Loop BB44_22 Depth 3
	v_lshlrev_b64 v[7:8], 2, v[5:6]
	v_add_co_u32 v7, vcc_lo, s36, v7
	v_add_co_ci_u32_e64 v8, null, s37, v8, vcc_lo
	s_and_b32 vcc_lo, exec_lo, s18
	global_load_dword v7, v[7:8], off
	s_waitcnt vmcnt(0)
	v_subrev_nc_u32_e32 v9, s44, v7
	v_lshlrev_b64 v[7:8], 3, v[5:6]
	v_ashrrev_i32_e32 v10, 31, v9
	s_cbranch_vccz .LBB44_33
; %bb.17:                               ;   in Loop: Header=BB44_16 Depth=2
	s_waitcnt lgkmcnt(0)
	v_add_co_u32 v11, vcc_lo, s30, v7
	v_add_co_ci_u32_e64 v12, null, s31, v8, vcc_lo
	global_load_dwordx2 v[13:14], v[11:12], off
	s_cbranch_execnz .LBB44_19
.LBB44_18:                              ;   in Loop: Header=BB44_16 Depth=2
	s_waitcnt lgkmcnt(0)
	v_lshlrev_b64 v[11:12], 3, v[9:10]
	v_add_co_u32 v11, vcc_lo, s38, v11
	v_add_co_ci_u32_e64 v12, null, s39, v12, vcc_lo
	global_load_dwordx2 v[11:12], v[11:12], off
	s_waitcnt vmcnt(0)
	v_sub_co_u32 v13, vcc_lo, v11, s34
	v_subrev_co_ci_u32_e64 v14, null, 0, v12, vcc_lo
.LBB44_19:                              ;   in Loop: Header=BB44_16 Depth=2
	v_lshlrev_b64 v[9:10], 3, v[9:10]
	s_mov_b32 s50, exec_lo
	v_add_co_u32 v9, vcc_lo, s38, v9
	v_add_co_ci_u32_e64 v10, null, s39, v10, vcc_lo
	global_load_dwordx2 v[9:10], v[9:10], off offset:8
	s_waitcnt vmcnt(0) lgkmcnt(0)
	v_sub_co_u32 v11, vcc_lo, v9, s34
	v_subrev_co_ci_u32_e64 v12, null, 0, v10, vcc_lo
	v_add_co_u32 v9, vcc_lo, v13, v19
	v_add_co_ci_u32_e64 v10, null, 0, v14, vcc_lo
	v_cmpx_lt_i64_e64 v[9:10], v[11:12]
	s_cbranch_execz .LBB44_31
; %bb.20:                               ;   in Loop: Header=BB44_16 Depth=2
	v_lshlrev_b64 v[13:14], 2, v[9:10]
	v_mov_b32_e32 v18, v10
	v_mov_b32_e32 v17, v9
	s_mov_b32 s52, 0
                                        ; implicit-def: $sgpr51
                                        ; implicit-def: $sgpr53
	v_add_co_u32 v13, vcc_lo, s40, v13
	v_add_co_ci_u32_e64 v14, null, s41, v14, vcc_lo
	s_inst_prefetch 0x1
	s_branch .LBB44_22
	.p2align	6
.LBB44_21:                              ;   in Loop: Header=BB44_22 Depth=3
	s_or_b32 exec_lo, exec_lo, s20
	s_and_b32 s19, exec_lo, s54
	s_or_b32 s52, s19, s52
	s_andn2_b32 s19, s51, exec_lo
	s_and_b32 s20, s53, exec_lo
	s_or_b32 s51, s19, s20
	s_andn2_b32 exec_lo, exec_lo, s52
	s_cbranch_execz .LBB44_28
.LBB44_22:                              ;   Parent Loop BB44_7 Depth=1
                                        ;     Parent Loop BB44_16 Depth=2
                                        ; =>    This Inner Loop Header: Depth=3
	global_load_dword v15, v[13:14], off
	s_waitcnt vmcnt(0)
	v_subrev_nc_u32_e32 v33, s45, v15
	v_mov_b32_e32 v15, v17
	v_mov_b32_e32 v16, v18
	v_cmp_lt_i32_e64 s19, v33, v30
	v_cmp_ge_i32_e64 s20, v33, v31
	v_cmp_lt_i32_e32 vcc_lo, v33, v31
	s_or_b32 s20, s19, s20
	s_mov_b32 s19, 0
	s_and_saveexec_b32 s54, s20
	s_xor_b32 s20, exec_lo, s54
; %bb.23:                               ;   in Loop: Header=BB44_22 Depth=3
	s_and_b32 s19, vcc_lo, exec_lo
; %bb.24:                               ;   in Loop: Header=BB44_22 Depth=3
	s_andn2_saveexec_b32 s20, s20
; %bb.25:                               ;   in Loop: Header=BB44_22 Depth=3
	v_sub_nc_u32_e32 v17, v33, v30
	s_or_b32 s19, s19, exec_lo
	ds_write_b8 v17, v29 offset:8192
; %bb.26:                               ;   in Loop: Header=BB44_22 Depth=3
	s_or_b32 exec_lo, exec_lo, s20
	s_mov_b32 s54, -1
	s_or_b32 s53, s53, exec_lo
                                        ; implicit-def: $vgpr17_vgpr18
	s_and_saveexec_b32 s20, s19
	s_cbranch_execz .LBB44_21
; %bb.27:                               ;   in Loop: Header=BB44_22 Depth=3
	v_add_co_u32 v17, vcc_lo, v15, 16
	v_add_co_ci_u32_e64 v18, null, 0, v16, vcc_lo
	v_add_co_u32 v13, s19, v13, 64
	v_add_co_ci_u32_e64 v14, null, 0, v14, s19
	v_cmp_ge_i64_e32 vcc_lo, v[17:18], v[11:12]
	s_andn2_b32 s53, s53, exec_lo
	s_orn2_b32 s54, vcc_lo, exec_lo
	s_branch .LBB44_21
.LBB44_28:                              ;   in Loop: Header=BB44_16 Depth=2
	s_inst_prefetch 0x2
	s_or_b32 exec_lo, exec_lo, s52
	s_and_saveexec_b32 s19, s51
	s_xor_b32 s19, exec_lo, s19
; %bb.29:                               ;   in Loop: Header=BB44_16 Depth=2
	v_mov_b32_e32 v9, v15
	v_min_i32_e32 v32, v33, v32
	v_mov_b32_e32 v10, v16
; %bb.30:                               ;   in Loop: Header=BB44_16 Depth=2
	s_or_b32 exec_lo, exec_lo, s19
.LBB44_31:                              ;   in Loop: Header=BB44_16 Depth=2
	s_or_b32 exec_lo, exec_lo, s50
	ds_bpermute_b32 v11, v23, v9
	ds_bpermute_b32 v12, v23, v10
	s_waitcnt lgkmcnt(0)
	v_cmp_lt_i64_e32 vcc_lo, v[11:12], v[9:10]
	v_cndmask_b32_e32 v10, v10, v12, vcc_lo
	v_cndmask_b32_e32 v9, v9, v11, vcc_lo
	ds_bpermute_b32 v12, v24, v10
	ds_bpermute_b32 v11, v24, v9
	s_waitcnt lgkmcnt(0)
	v_cmp_lt_i64_e32 vcc_lo, v[11:12], v[9:10]
	v_cndmask_b32_e32 v10, v10, v12, vcc_lo
	v_cndmask_b32_e32 v9, v9, v11, vcc_lo
	;; [unrolled: 6-line block ×3, first 2 shown]
	ds_bpermute_b32 v13, v26, v10
	ds_bpermute_b32 v11, v26, v9
	s_and_saveexec_b32 s20, s1
	s_cbranch_execz .LBB44_15
; %bb.32:                               ;   in Loop: Header=BB44_16 Depth=2
	s_waitcnt lgkmcnt(1)
	v_mov_b32_e32 v12, v13
	v_add_co_u32 v7, s19, s30, v7
	v_add_co_ci_u32_e64 v8, null, s31, v8, s19
	s_waitcnt lgkmcnt(0)
	v_cmp_lt_i64_e32 vcc_lo, v[11:12], v[9:10]
	v_cndmask_b32_e32 v10, v10, v13, vcc_lo
	v_cndmask_b32_e32 v9, v9, v11, vcc_lo
	global_store_dwordx2 v[7:8], v[9:10], off
	s_branch .LBB44_15
.LBB44_33:                              ;   in Loop: Header=BB44_16 Depth=2
                                        ; implicit-def: $vgpr13_vgpr14
	s_branch .LBB44_18
.LBB44_34:                              ;   in Loop: Header=BB44_7 Depth=1
	ds_write_b8 v0, v20 offset:8192
	s_or_b32 exec_lo, exec_lo, s18
	s_and_saveexec_b32 s18, s48
	s_cbranch_execz .LBB44_9
.LBB44_35:                              ;   in Loop: Header=BB44_7 Depth=1
	ds_write_b8 v0, v20 offset:8704
	s_or_b32 exec_lo, exec_lo, s18
	s_and_saveexec_b32 s18, s48
	s_cbranch_execz .LBB44_10
.LBB44_36:                              ;   in Loop: Header=BB44_7 Depth=1
	ds_write_b8 v0, v20 offset:9216
	s_or_b32 exec_lo, exec_lo, s18
	s_and_saveexec_b32 s18, s48
	s_cbranch_execz .LBB44_11
.LBB44_37:                              ;   in Loop: Header=BB44_7 Depth=1
	ds_write_b8 v0, v20 offset:9728
	s_or_b32 exec_lo, exec_lo, s18
	s_and_saveexec_b32 s18, s0
	s_cbranch_execnz .LBB44_12
	s_branch .LBB44_13
.LBB44_38:                              ;   in Loop: Header=BB44_7 Depth=1
	s_or_b32 exec_lo, exec_lo, s49
.LBB44_39:                              ;   in Loop: Header=BB44_7 Depth=1
	s_or_b32 exec_lo, exec_lo, s21
	s_andn2_b32 vcc_lo, exec_lo, s35
	s_cbranch_vccnz .LBB44_53
; %bb.40:                               ;   in Loop: Header=BB44_7 Depth=1
	s_load_dwordx4 s[52:55], s[26:27], 0x0
	s_mov_b32 s49, exec_lo
	s_waitcnt lgkmcnt(0)
	v_add_co_u32 v5, vcc_lo, s52, v21
	v_add_co_ci_u32_e64 v6, null, s53, v22, vcc_lo
	s_sub_u32 s20, s54, s42
	s_subb_u32 s21, s55, 0
	v_cmpx_gt_i64_e64 s[20:21], v[5:6]
	s_cbranch_execz .LBB44_52
; %bb.41:                               ;   in Loop: Header=BB44_7 Depth=1
	v_lshlrev_b64 v[7:8], 2, v[5:6]
	s_mov_b32 s50, 0
                                        ; implicit-def: $sgpr51
                                        ; implicit-def: $sgpr52
	v_add_co_u32 v7, vcc_lo, s24, v7
	v_add_co_ci_u32_e64 v8, null, s25, v8, vcc_lo
	s_inst_prefetch 0x1
	s_branch .LBB44_43
	.p2align	6
.LBB44_42:                              ;   in Loop: Header=BB44_43 Depth=2
	s_or_b32 exec_lo, exec_lo, s19
	s_and_b32 s18, exec_lo, s53
	s_or_b32 s50, s18, s50
	s_andn2_b32 s18, s51, exec_lo
	s_and_b32 s19, s52, exec_lo
	s_or_b32 s51, s18, s19
	s_andn2_b32 exec_lo, exec_lo, s50
	s_cbranch_execz .LBB44_49
.LBB44_43:                              ;   Parent Loop BB44_7 Depth=1
                                        ; =>  This Inner Loop Header: Depth=2
	global_load_dword v9, v[7:8], off
	s_waitcnt vmcnt(0)
	v_subrev_nc_u32_e32 v9, s47, v9
	v_cmp_lt_i32_e64 s18, v9, v30
	v_cmp_ge_i32_e64 s19, v9, v31
	v_cmp_lt_i32_e32 vcc_lo, v9, v31
	s_or_b32 s19, s18, s19
	s_mov_b32 s18, 0
	s_and_saveexec_b32 s53, s19
	s_xor_b32 s19, exec_lo, s53
; %bb.44:                               ;   in Loop: Header=BB44_43 Depth=2
	s_and_b32 s18, vcc_lo, exec_lo
; %bb.45:                               ;   in Loop: Header=BB44_43 Depth=2
	s_andn2_saveexec_b32 s19, s19
; %bb.46:                               ;   in Loop: Header=BB44_43 Depth=2
	v_sub_nc_u32_e32 v10, v9, v30
	s_or_b32 s18, s18, exec_lo
	ds_write_b8 v10, v29 offset:8192
; %bb.47:                               ;   in Loop: Header=BB44_43 Depth=2
	s_or_b32 exec_lo, exec_lo, s19
	s_mov_b32 s53, -1
	s_or_b32 s52, s52, exec_lo
	s_and_saveexec_b32 s19, s18
	s_cbranch_execz .LBB44_42
; %bb.48:                               ;   in Loop: Header=BB44_43 Depth=2
	v_add_co_u32 v5, vcc_lo, 0x200, v5
	v_add_co_ci_u32_e64 v6, null, 0, v6, vcc_lo
	v_add_co_u32 v7, s18, 0x800, v7
	v_add_co_ci_u32_e64 v8, null, 0, v8, s18
	v_cmp_le_i64_e32 vcc_lo, s[20:21], v[5:6]
	s_andn2_b32 s52, s52, exec_lo
	s_orn2_b32 s53, vcc_lo, exec_lo
	s_branch .LBB44_42
.LBB44_49:                              ;   in Loop: Header=BB44_7 Depth=1
	s_inst_prefetch 0x2
	s_or_b32 exec_lo, exec_lo, s50
	s_and_saveexec_b32 s18, s51
	s_xor_b32 s18, exec_lo, s18
; %bb.50:                               ;   in Loop: Header=BB44_7 Depth=1
	v_min_i32_e32 v32, v9, v32
; %bb.51:                               ;   in Loop: Header=BB44_7 Depth=1
	s_or_b32 exec_lo, exec_lo, s18
.LBB44_52:                              ;   in Loop: Header=BB44_7 Depth=1
	s_or_b32 exec_lo, exec_lo, s49
.LBB44_53:                              ;   in Loop: Header=BB44_7 Depth=1
	ds_bpermute_b32 v5, v23, v32
	s_waitcnt lgkmcnt(0)
	v_min_i32_e32 v5, v5, v32
	ds_bpermute_b32 v6, v24, v5
	s_waitcnt lgkmcnt(0)
	v_min_i32_e32 v5, v6, v5
	;; [unrolled: 3-line block ×3, first 2 shown]
	ds_bpermute_b32 v6, v26, v5
	s_and_saveexec_b32 s18, s1
	s_cbranch_execz .LBB44_58
; %bb.54:                               ;   in Loop: Header=BB44_7 Depth=1
	s_waitcnt lgkmcnt(0)
	v_min_i32_e32 v5, v6, v5
	s_mov_b32 s20, exec_lo
	s_brev_b32 s19, -2
.LBB44_55:                              ;   Parent Loop BB44_7 Depth=1
                                        ; =>  This Inner Loop Header: Depth=2
	s_ff1_i32_b32 s21, s20
	v_readlane_b32 s49, v5, s21
	s_lshl_b32 s21, 1, s21
	s_andn2_b32 s20, s20, s21
	s_min_i32 s19, s19, s49
	s_cmp_lg_u32 s20, 0
	s_cbranch_scc1 .LBB44_55
; %bb.56:                               ;   in Loop: Header=BB44_7 Depth=1
	v_mbcnt_lo_u32_b32 v5, exec_lo, 0
	s_mov_b32 s20, exec_lo
	v_cmpx_eq_u32_e32 0, v5
	s_xor_b32 s20, exec_lo, s20
; %bb.57:                               ;   in Loop: Header=BB44_7 Depth=1
	v_mov_b32_e32 v5, s19
	ds_min_i32 v20, v5 offset:10240
.LBB44_58:                              ;   in Loop: Header=BB44_7 Depth=1
	s_or_b32 exec_lo, exec_lo, s18
	v_add_nc_u32_e32 v7, s46, v30
	v_mov_b32_e32 v8, v0
	s_mov_b32 s19, 0
	s_waitcnt lgkmcnt(0)
	s_waitcnt_vscnt null, 0x0
	s_barrier
	buffer_gl0_inv
	s_branch .LBB44_60
.LBB44_59:                              ;   in Loop: Header=BB44_60 Depth=2
	s_or_b32 exec_lo, exec_lo, s18
	s_waitcnt lgkmcnt(0)
	s_waitcnt_vscnt null, 0x0
	s_barrier
	buffer_gl0_inv
	ds_read_b32 v5, v20 offset:60
	v_add_nc_u32_e32 v6, 0x200, v8
	v_cmp_lt_u32_e32 vcc_lo, 0x5ff, v8
	v_mov_b32_e32 v8, v6
	s_or_b32 s19, vcc_lo, s19
	s_waitcnt lgkmcnt(0)
	v_ashrrev_i32_e32 v9, 31, v5
	v_add_co_u32 v3, s18, v3, v5
	v_add_co_ci_u32_e64 v4, null, v4, v9, s18
	s_andn2_b32 exec_lo, exec_lo, s19
	s_cbranch_execz .LBB44_6
.LBB44_60:                              ;   Parent Loop BB44_7 Depth=1
                                        ; =>  This Inner Loop Header: Depth=2
	ds_read_u8 v5, v8 offset:8192
	s_waitcnt lgkmcnt(0)
	s_barrier
	buffer_gl0_inv
	v_cmp_ne_u16_e32 vcc_lo, 0, v5
	s_bcnt1_i32_b32 s18, vcc_lo
	v_mov_b32_e32 v6, s18
	s_mov_b32 s18, exec_lo
	ds_write_b32 v28, v6
	s_waitcnt lgkmcnt(0)
	s_barrier
	buffer_gl0_inv
	ds_read_b128 v[9:12], v20
	ds_read_b128 v[13:16], v20 offset:16
	v_and_b32_e32 v6, vcc_lo, v27
	ds_read_b128 v[30:33], v20 offset:32
	s_waitcnt lgkmcnt(2)
	v_cndmask_b32_e64 v9, v9, 0, s3
	v_cndmask_b32_e64 v17, v10, 0, s4
	;; [unrolled: 1-line block ×4, first 2 shown]
	s_waitcnt lgkmcnt(1)
	v_cndmask_b32_e64 v13, v13, 0, s7
	v_bcnt_u32_b32 v6, v6, v9
	ds_read_b96 v[9:11], v20 offset:48
	v_cndmask_b32_e64 v14, v14, 0, s8
	v_cndmask_b32_e64 v15, v15, 0, s9
	v_add3_u32 v6, v6, v17, v18
	v_add3_u32 v6, v6, v12, v13
	v_cndmask_b32_e64 v12, v16, 0, s10
	s_waitcnt lgkmcnt(1)
	v_cndmask_b32_e64 v13, v30, 0, s11
	v_add3_u32 v6, v6, v14, v15
	v_cndmask_b32_e64 v14, v31, 0, s12
	v_cndmask_b32_e64 v15, v32, 0, s13
	v_add3_u32 v6, v6, v12, v13
	v_cndmask_b32_e64 v12, v33, 0, s14
	s_waitcnt lgkmcnt(0)
	v_cndmask_b32_e64 v9, v9, 0, s15
	v_cndmask_b32_e64 v10, v10, 0, s16
	;; [unrolled: 1-line block ×3, first 2 shown]
	v_add3_u32 v6, v6, v14, v15
	v_add3_u32 v6, v6, v12, v9
	v_and_b32_e32 v9, 1, v5
	v_add3_u32 v5, v6, v10, v11
	v_cmpx_eq_u32_e32 1, v9
	s_cbranch_execz .LBB44_62
; %bb.61:                               ;   in Loop: Header=BB44_60 Depth=2
	v_ashrrev_i32_e32 v6, 31, v5
	v_lshlrev_b64 v[9:10], 2, v[3:4]
	v_add_nc_u32_e32 v13, v7, v8
	v_lshlrev_b64 v[11:12], 2, v[5:6]
	v_add_co_u32 v6, vcc_lo, s28, v9
	v_add_co_ci_u32_e64 v10, null, s29, v10, vcc_lo
	v_add_co_u32 v9, vcc_lo, v6, v11
	v_add_co_ci_u32_e64 v10, null, v10, v12, vcc_lo
	global_store_dword v[9:10], v13, off offset:-4
.LBB44_62:                              ;   in Loop: Header=BB44_60 Depth=2
	s_or_b32 exec_lo, exec_lo, s18
	s_and_saveexec_b32 s18, s2
	s_cbranch_execz .LBB44_59
; %bb.63:                               ;   in Loop: Header=BB44_60 Depth=2
	ds_write_b32 v20, v5 offset:60
	s_branch .LBB44_59
.LBB44_64:
	s_endpgm
	.section	.rodata,"a",@progbits
	.p2align	6, 0x0
	.amdhsa_kernel _ZN9rocsparseL45csrgemm_symbolic_fill_block_per_row_multipassILj512ELj16ELj2048ELj32EliEEvT4_PKS1_S3_PKT3_S3_S6_S3_S6_S3_S6_PS1_PS4_21rocsparse_index_base_S9_S9_S9_bb
		.amdhsa_group_segment_fixed_size 10244
		.amdhsa_private_segment_fixed_size 0
		.amdhsa_kernarg_size 116
		.amdhsa_user_sgpr_count 6
		.amdhsa_user_sgpr_private_segment_buffer 1
		.amdhsa_user_sgpr_dispatch_ptr 0
		.amdhsa_user_sgpr_queue_ptr 0
		.amdhsa_user_sgpr_kernarg_segment_ptr 1
		.amdhsa_user_sgpr_dispatch_id 0
		.amdhsa_user_sgpr_flat_scratch_init 0
		.amdhsa_user_sgpr_private_segment_size 0
		.amdhsa_wavefront_size32 1
		.amdhsa_uses_dynamic_stack 0
		.amdhsa_system_sgpr_private_segment_wavefront_offset 0
		.amdhsa_system_sgpr_workgroup_id_x 1
		.amdhsa_system_sgpr_workgroup_id_y 0
		.amdhsa_system_sgpr_workgroup_id_z 0
		.amdhsa_system_sgpr_workgroup_info 0
		.amdhsa_system_vgpr_workitem_id 0
		.amdhsa_next_free_vgpr 34
		.amdhsa_next_free_sgpr 56
		.amdhsa_reserve_vcc 1
		.amdhsa_reserve_flat_scratch 0
		.amdhsa_float_round_mode_32 0
		.amdhsa_float_round_mode_16_64 0
		.amdhsa_float_denorm_mode_32 3
		.amdhsa_float_denorm_mode_16_64 3
		.amdhsa_dx10_clamp 1
		.amdhsa_ieee_mode 1
		.amdhsa_fp16_overflow 0
		.amdhsa_workgroup_processor_mode 1
		.amdhsa_memory_ordered 1
		.amdhsa_forward_progress 1
		.amdhsa_shared_vgpr_count 0
		.amdhsa_exception_fp_ieee_invalid_op 0
		.amdhsa_exception_fp_denorm_src 0
		.amdhsa_exception_fp_ieee_div_zero 0
		.amdhsa_exception_fp_ieee_overflow 0
		.amdhsa_exception_fp_ieee_underflow 0
		.amdhsa_exception_fp_ieee_inexact 0
		.amdhsa_exception_int_div_zero 0
	.end_amdhsa_kernel
	.section	.text._ZN9rocsparseL45csrgemm_symbolic_fill_block_per_row_multipassILj512ELj16ELj2048ELj32EliEEvT4_PKS1_S3_PKT3_S3_S6_S3_S6_S3_S6_PS1_PS4_21rocsparse_index_base_S9_S9_S9_bb,"axG",@progbits,_ZN9rocsparseL45csrgemm_symbolic_fill_block_per_row_multipassILj512ELj16ELj2048ELj32EliEEvT4_PKS1_S3_PKT3_S3_S6_S3_S6_S3_S6_PS1_PS4_21rocsparse_index_base_S9_S9_S9_bb,comdat
.Lfunc_end44:
	.size	_ZN9rocsparseL45csrgemm_symbolic_fill_block_per_row_multipassILj512ELj16ELj2048ELj32EliEEvT4_PKS1_S3_PKT3_S3_S6_S3_S6_S3_S6_PS1_PS4_21rocsparse_index_base_S9_S9_S9_bb, .Lfunc_end44-_ZN9rocsparseL45csrgemm_symbolic_fill_block_per_row_multipassILj512ELj16ELj2048ELj32EliEEvT4_PKS1_S3_PKT3_S3_S6_S3_S6_S3_S6_PS1_PS4_21rocsparse_index_base_S9_S9_S9_bb
                                        ; -- End function
	.set _ZN9rocsparseL45csrgemm_symbolic_fill_block_per_row_multipassILj512ELj16ELj2048ELj32EliEEvT4_PKS1_S3_PKT3_S3_S6_S3_S6_S3_S6_PS1_PS4_21rocsparse_index_base_S9_S9_S9_bb.num_vgpr, 34
	.set _ZN9rocsparseL45csrgemm_symbolic_fill_block_per_row_multipassILj512ELj16ELj2048ELj32EliEEvT4_PKS1_S3_PKT3_S3_S6_S3_S6_S3_S6_PS1_PS4_21rocsparse_index_base_S9_S9_S9_bb.num_agpr, 0
	.set _ZN9rocsparseL45csrgemm_symbolic_fill_block_per_row_multipassILj512ELj16ELj2048ELj32EliEEvT4_PKS1_S3_PKT3_S3_S6_S3_S6_S3_S6_PS1_PS4_21rocsparse_index_base_S9_S9_S9_bb.numbered_sgpr, 56
	.set _ZN9rocsparseL45csrgemm_symbolic_fill_block_per_row_multipassILj512ELj16ELj2048ELj32EliEEvT4_PKS1_S3_PKT3_S3_S6_S3_S6_S3_S6_PS1_PS4_21rocsparse_index_base_S9_S9_S9_bb.num_named_barrier, 0
	.set _ZN9rocsparseL45csrgemm_symbolic_fill_block_per_row_multipassILj512ELj16ELj2048ELj32EliEEvT4_PKS1_S3_PKT3_S3_S6_S3_S6_S3_S6_PS1_PS4_21rocsparse_index_base_S9_S9_S9_bb.private_seg_size, 0
	.set _ZN9rocsparseL45csrgemm_symbolic_fill_block_per_row_multipassILj512ELj16ELj2048ELj32EliEEvT4_PKS1_S3_PKT3_S3_S6_S3_S6_S3_S6_PS1_PS4_21rocsparse_index_base_S9_S9_S9_bb.uses_vcc, 1
	.set _ZN9rocsparseL45csrgemm_symbolic_fill_block_per_row_multipassILj512ELj16ELj2048ELj32EliEEvT4_PKS1_S3_PKT3_S3_S6_S3_S6_S3_S6_PS1_PS4_21rocsparse_index_base_S9_S9_S9_bb.uses_flat_scratch, 0
	.set _ZN9rocsparseL45csrgemm_symbolic_fill_block_per_row_multipassILj512ELj16ELj2048ELj32EliEEvT4_PKS1_S3_PKT3_S3_S6_S3_S6_S3_S6_PS1_PS4_21rocsparse_index_base_S9_S9_S9_bb.has_dyn_sized_stack, 0
	.set _ZN9rocsparseL45csrgemm_symbolic_fill_block_per_row_multipassILj512ELj16ELj2048ELj32EliEEvT4_PKS1_S3_PKT3_S3_S6_S3_S6_S3_S6_PS1_PS4_21rocsparse_index_base_S9_S9_S9_bb.has_recursion, 0
	.set _ZN9rocsparseL45csrgemm_symbolic_fill_block_per_row_multipassILj512ELj16ELj2048ELj32EliEEvT4_PKS1_S3_PKT3_S3_S6_S3_S6_S3_S6_PS1_PS4_21rocsparse_index_base_S9_S9_S9_bb.has_indirect_call, 0
	.section	.AMDGPU.csdata,"",@progbits
; Kernel info:
; codeLenInByte = 2744
; TotalNumSgprs: 58
; NumVgprs: 34
; ScratchSize: 0
; MemoryBound: 0
; FloatMode: 240
; IeeeMode: 1
; LDSByteSize: 10244 bytes/workgroup (compile time only)
; SGPRBlocks: 0
; VGPRBlocks: 4
; NumSGPRsForWavesPerEU: 58
; NumVGPRsForWavesPerEU: 34
; Occupancy: 16
; WaveLimiterHint : 1
; COMPUTE_PGM_RSRC2:SCRATCH_EN: 0
; COMPUTE_PGM_RSRC2:USER_SGPR: 6
; COMPUTE_PGM_RSRC2:TRAP_HANDLER: 0
; COMPUTE_PGM_RSRC2:TGID_X_EN: 1
; COMPUTE_PGM_RSRC2:TGID_Y_EN: 0
; COMPUTE_PGM_RSRC2:TGID_Z_EN: 0
; COMPUTE_PGM_RSRC2:TIDIG_COMP_CNT: 0
	.section	.text._ZN9rocsparseL45csrgemm_symbolic_fill_block_per_row_multipassILj512ELj16ELj2048ELj64EliEEvT4_PKS1_S3_PKT3_S3_S6_S3_S6_S3_S6_PS1_PS4_21rocsparse_index_base_S9_S9_S9_bb,"axG",@progbits,_ZN9rocsparseL45csrgemm_symbolic_fill_block_per_row_multipassILj512ELj16ELj2048ELj64EliEEvT4_PKS1_S3_PKT3_S3_S6_S3_S6_S3_S6_PS1_PS4_21rocsparse_index_base_S9_S9_S9_bb,comdat
	.globl	_ZN9rocsparseL45csrgemm_symbolic_fill_block_per_row_multipassILj512ELj16ELj2048ELj64EliEEvT4_PKS1_S3_PKT3_S3_S6_S3_S6_S3_S6_PS1_PS4_21rocsparse_index_base_S9_S9_S9_bb ; -- Begin function _ZN9rocsparseL45csrgemm_symbolic_fill_block_per_row_multipassILj512ELj16ELj2048ELj64EliEEvT4_PKS1_S3_PKT3_S3_S6_S3_S6_S3_S6_PS1_PS4_21rocsparse_index_base_S9_S9_S9_bb
	.p2align	8
	.type	_ZN9rocsparseL45csrgemm_symbolic_fill_block_per_row_multipassILj512ELj16ELj2048ELj64EliEEvT4_PKS1_S3_PKT3_S3_S6_S3_S6_S3_S6_PS1_PS4_21rocsparse_index_base_S9_S9_S9_bb,@function
_ZN9rocsparseL45csrgemm_symbolic_fill_block_per_row_multipassILj512ELj16ELj2048ELj64EliEEvT4_PKS1_S3_PKT3_S3_S6_S3_S6_S3_S6_PS1_PS4_21rocsparse_index_base_S9_S9_S9_bb: ; @_ZN9rocsparseL45csrgemm_symbolic_fill_block_per_row_multipassILj512ELj16ELj2048ELj64EliEEvT4_PKS1_S3_PKT3_S3_S6_S3_S6_S3_S6_PS1_PS4_21rocsparse_index_base_S9_S9_S9_bb
; %bb.0:
	s_clause 0x2
	s_load_dwordx4 s[12:15], s[4:5], 0x8
	s_load_dword s8, s[4:5], 0x70
	s_load_dwordx2 s[0:1], s[4:5], 0x18
	s_mov_b32 s3, 0
	s_waitcnt lgkmcnt(0)
	s_load_dword s2, s[12:13], 0x0
	s_load_dwordx4 s[36:39], s[4:5], 0x60
	s_bitcmp1_b32 s8, 0
	s_cselect_b32 s10, -1, 0
	s_waitcnt lgkmcnt(0)
	s_add_i32 s2, s2, s6
	s_mov_b64 s[6:7], 0
	s_lshl_b64 s[2:3], s[2:3], 2
	s_add_u32 s2, s14, s2
	s_addc_u32 s3, s15, s3
	s_mov_b64 s[14:15], 0
	s_load_dword s2, s[2:3], 0x0
	s_bitcmp0_b32 s8, 0
	s_cbranch_scc0 .LBB45_3
; %bb.1:
	s_andn2_b32 vcc_lo, exec_lo, s10
	s_cbranch_vccz .LBB45_4
.LBB45_2:
	s_load_dword s33, s[4:5], 0x0
	s_waitcnt lgkmcnt(0)
	s_cmp_lt_i32 s33, 1
	s_cbranch_scc0 .LBB45_5
	s_branch .LBB45_64
.LBB45_3:
	s_waitcnt lgkmcnt(0)
	s_ashr_i32 s3, s2, 31
	s_lshl_b64 s[6:7], s[2:3], 3
	s_add_u32 s6, s0, s6
	s_addc_u32 s7, s1, s7
	s_load_dwordx2 s[6:7], s[6:7], 0x0
	s_waitcnt lgkmcnt(0)
	s_sub_u32 s6, s6, s36
	s_subb_u32 s7, s7, 0
	s_andn2_b32 vcc_lo, exec_lo, s10
	s_cbranch_vccnz .LBB45_2
.LBB45_4:
	s_waitcnt lgkmcnt(0)
	s_ashr_i32 s3, s2, 31
	s_lshl_b64 s[12:13], s[2:3], 3
	s_add_u32 s0, s0, s12
	s_addc_u32 s1, s1, s13
	s_load_dwordx2 s[0:1], s[0:1], 0x8
	s_waitcnt lgkmcnt(0)
	s_sub_u32 s14, s0, s36
	s_subb_u32 s15, s1, 0
	s_load_dword s33, s[4:5], 0x0
	s_waitcnt lgkmcnt(0)
	s_cmp_lt_i32 s33, 1
	s_cbranch_scc1 .LBB45_64
.LBB45_5:
	s_clause 0x1
	s_load_dwordx8 s[16:23], s[4:5], 0x40
	s_load_dwordx8 s[24:31], s[4:5], 0x20
	v_mbcnt_lo_u32_b32 v4, -1, 0
	s_bitcmp1_b32 s8, 8
	v_lshrrev_b32_e32 v3, 4, v0
	s_cselect_b32 s35, -1, 0
	s_ashr_i32 s3, s2, 31
	v_xor_b32_e32 v5, 8, v4
	s_lshl_b64 s[4:5], s[2:3], 3
	v_sub_co_u32 v21, s1, v0, s39
	v_sub_co_ci_u32_e64 v22, null, 0, 0, s1
	v_add_co_u32 v1, s1, s6, v3
	v_add_co_ci_u32_e64 v2, null, s7, 0, s1
	v_xor_b32_e32 v6, 4, v4
	v_xor_b32_e32 v7, 2, v4
	;; [unrolled: 1-line block ×3, first 2 shown]
	s_waitcnt lgkmcnt(0)
	s_add_u32 s2, s18, s4
	s_addc_u32 s3, s19, s5
	v_xor_b32_e32 v9, 31, v4
	s_load_dwordx2 s[6:7], s[2:3], 0x0
	v_cmp_gt_i32_e64 s2, 32, v5
	v_and_b32_e32 v19, 15, v0
	v_cmp_gt_i64_e32 vcc_lo, s[14:15], v[1:2]
	v_and_b32_e32 v28, 28, v3
	v_cmp_eq_u32_e64 s0, 0, v0
	v_cndmask_b32_e64 v5, v4, v5, s2
	v_cmp_gt_i32_e64 s2, 32, v6
	v_mov_b32_e32 v20, 0
	v_cmp_eq_u32_e64 s1, 15, v19
	v_lshrrev_b32_e64 v23, v9, -1
	v_lshlrev_b32_e32 v24, 2, v5
	v_cndmask_b32_e64 v6, v4, v6, s2
	v_cmp_gt_i32_e64 s2, 32, v7
	v_cmp_gt_u32_e64 s3, 64, v0
	v_cmp_gt_u32_e64 s8, 0x180, v0
	;; [unrolled: 1-line block ×3, first 2 shown]
	v_lshlrev_b32_e32 v25, 2, v6
	v_cndmask_b32_e64 v7, v4, v7, s2
	v_cmp_gt_i32_e64 s2, 32, v8
	s_waitcnt lgkmcnt(0)
	s_sub_u32 s12, s6, s38
	s_subb_u32 s13, s7, 0
	s_add_u32 s18, s30, s4
	v_lshlrev_b32_e32 v26, 2, v7
	v_cndmask_b32_e64 v4, v4, v8, s2
	s_addc_u32 s19, s31, s5
	v_cmp_eq_u32_e64 s2, 0x1ff, v0
	v_cmp_gt_u32_e64 s4, 0x80, v0
	v_cmp_gt_u32_e64 s5, 0xc0, v0
	v_lshlrev_b32_e32 v27, 2, v4
	v_mov_b32_e32 v3, s12
	v_cmp_gt_u32_e64 s6, 0x100, v0
	v_cmp_gt_u32_e64 s7, 0x140, v0
	v_mov_b32_e32 v31, 0x800
	v_mov_b32_e32 v4, s13
	;; [unrolled: 1-line block ×4, first 2 shown]
	s_mov_b32 s34, s37
	s_mov_b32 s30, s39
	s_and_b32 s31, s10, vcc_lo
	s_mov_b32 s40, -1
	s_branch .LBB45_7
.LBB45_6:                               ;   in Loop: Header=BB45_7 Depth=1
	s_or_b32 exec_lo, exec_lo, s11
	ds_read_b32 v30, v20 offset:10240
	s_waitcnt lgkmcnt(0)
	s_barrier
	buffer_gl0_inv
	v_cmp_le_i32_e32 vcc_lo, s33, v30
	v_add_nc_u32_e32 v31, 0x800, v30
	s_cbranch_vccnz .LBB45_64
.LBB45_7:                               ; =>This Loop Header: Depth=1
                                        ;     Child Loop BB45_16 Depth 2
                                        ;       Child Loop BB45_22 Depth 3
                                        ;     Child Loop BB45_43 Depth 2
                                        ;     Child Loop BB45_55 Depth 2
	;; [unrolled: 1-line block ×3, first 2 shown]
	s_and_saveexec_b32 s10, s40
	s_cbranch_execnz .LBB45_34
; %bb.8:                                ;   in Loop: Header=BB45_7 Depth=1
	s_or_b32 exec_lo, exec_lo, s10
	s_and_saveexec_b32 s10, s40
	s_cbranch_execnz .LBB45_35
.LBB45_9:                               ;   in Loop: Header=BB45_7 Depth=1
	s_or_b32 exec_lo, exec_lo, s10
	s_and_saveexec_b32 s10, s40
	s_cbranch_execnz .LBB45_36
.LBB45_10:                              ;   in Loop: Header=BB45_7 Depth=1
	s_or_b32 exec_lo, exec_lo, s10
	s_and_saveexec_b32 s10, s40
	s_cbranch_execnz .LBB45_37
.LBB45_11:                              ;   in Loop: Header=BB45_7 Depth=1
	s_or_b32 exec_lo, exec_lo, s10
	s_and_saveexec_b32 s10, s0
.LBB45_12:                              ;   in Loop: Header=BB45_7 Depth=1
	v_mov_b32_e32 v5, s33
	ds_write_b32 v20, v5 offset:10240
.LBB45_13:                              ;   in Loop: Header=BB45_7 Depth=1
	s_or_b32 exec_lo, exec_lo, s10
	v_mov_b32_e32 v32, s33
	s_waitcnt lgkmcnt(0)
	s_barrier
	buffer_gl0_inv
	s_and_saveexec_b32 s13, s31
	s_cbranch_execz .LBB45_39
; %bb.14:                               ;   in Loop: Header=BB45_7 Depth=1
	v_mov_b32_e32 v6, v2
	v_cmp_ne_u32_e64 s10, 0, v30
	v_mov_b32_e32 v32, s33
	v_mov_b32_e32 v5, v1
	s_mov_b32 s41, 0
	s_branch .LBB45_16
.LBB45_15:                              ;   in Loop: Header=BB45_16 Depth=2
	s_or_b32 exec_lo, exec_lo, s12
	v_add_co_u32 v5, vcc_lo, v5, 32
	v_add_co_ci_u32_e64 v6, null, 0, v6, vcc_lo
	v_cmp_le_i64_e32 vcc_lo, s[14:15], v[5:6]
	s_or_b32 s41, vcc_lo, s41
	s_andn2_b32 exec_lo, exec_lo, s41
	s_cbranch_execz .LBB45_38
.LBB45_16:                              ;   Parent Loop BB45_7 Depth=1
                                        ; =>  This Loop Header: Depth=2
                                        ;       Child Loop BB45_22 Depth 3
	v_lshlrev_b64 v[7:8], 2, v[5:6]
	v_add_co_u32 v7, vcc_lo, s24, v7
	v_add_co_ci_u32_e64 v8, null, s25, v8, vcc_lo
	s_and_b32 vcc_lo, exec_lo, s10
	global_load_dword v7, v[7:8], off
	s_waitcnt vmcnt(0)
	v_subrev_nc_u32_e32 v9, s36, v7
	v_lshlrev_b64 v[7:8], 3, v[5:6]
	v_ashrrev_i32_e32 v10, 31, v9
	s_cbranch_vccz .LBB45_33
; %bb.17:                               ;   in Loop: Header=BB45_16 Depth=2
	s_waitcnt lgkmcnt(0)
	v_add_co_u32 v11, vcc_lo, s22, v7
	v_add_co_ci_u32_e64 v12, null, s23, v8, vcc_lo
	global_load_dwordx2 v[13:14], v[11:12], off
	s_cbranch_execnz .LBB45_19
.LBB45_18:                              ;   in Loop: Header=BB45_16 Depth=2
	s_waitcnt lgkmcnt(0)
	v_lshlrev_b64 v[11:12], 3, v[9:10]
	v_add_co_u32 v11, vcc_lo, s26, v11
	v_add_co_ci_u32_e64 v12, null, s27, v12, vcc_lo
	global_load_dwordx2 v[11:12], v[11:12], off
	s_waitcnt vmcnt(0)
	v_sub_co_u32 v13, vcc_lo, v11, s34
	v_subrev_co_ci_u32_e64 v14, null, 0, v12, vcc_lo
.LBB45_19:                              ;   in Loop: Header=BB45_16 Depth=2
	v_lshlrev_b64 v[9:10], 3, v[9:10]
	s_mov_b32 s42, exec_lo
	v_add_co_u32 v9, vcc_lo, s26, v9
	v_add_co_ci_u32_e64 v10, null, s27, v10, vcc_lo
	global_load_dwordx2 v[9:10], v[9:10], off offset:8
	s_waitcnt vmcnt(0) lgkmcnt(0)
	v_sub_co_u32 v11, vcc_lo, v9, s34
	v_subrev_co_ci_u32_e64 v12, null, 0, v10, vcc_lo
	v_add_co_u32 v9, vcc_lo, v13, v19
	v_add_co_ci_u32_e64 v10, null, 0, v14, vcc_lo
	v_cmpx_lt_i64_e64 v[9:10], v[11:12]
	s_cbranch_execz .LBB45_31
; %bb.20:                               ;   in Loop: Header=BB45_16 Depth=2
	v_lshlrev_b64 v[13:14], 2, v[9:10]
	v_mov_b32_e32 v18, v10
	v_mov_b32_e32 v17, v9
	s_mov_b32 s44, 0
                                        ; implicit-def: $sgpr43
                                        ; implicit-def: $sgpr45
	v_add_co_u32 v13, vcc_lo, s28, v13
	v_add_co_ci_u32_e64 v14, null, s29, v14, vcc_lo
	s_inst_prefetch 0x1
	s_branch .LBB45_22
	.p2align	6
.LBB45_21:                              ;   in Loop: Header=BB45_22 Depth=3
	s_or_b32 exec_lo, exec_lo, s12
	s_and_b32 s11, exec_lo, s46
	s_or_b32 s44, s11, s44
	s_andn2_b32 s11, s43, exec_lo
	s_and_b32 s12, s45, exec_lo
	s_or_b32 s43, s11, s12
	s_andn2_b32 exec_lo, exec_lo, s44
	s_cbranch_execz .LBB45_28
.LBB45_22:                              ;   Parent Loop BB45_7 Depth=1
                                        ;     Parent Loop BB45_16 Depth=2
                                        ; =>    This Inner Loop Header: Depth=3
	global_load_dword v15, v[13:14], off
	s_waitcnt vmcnt(0)
	v_subrev_nc_u32_e32 v33, s37, v15
	v_mov_b32_e32 v15, v17
	v_mov_b32_e32 v16, v18
	v_cmp_lt_i32_e64 s11, v33, v30
	v_cmp_ge_i32_e64 s12, v33, v31
	v_cmp_lt_i32_e32 vcc_lo, v33, v31
	s_or_b32 s12, s11, s12
	s_mov_b32 s11, 0
	s_and_saveexec_b32 s46, s12
	s_xor_b32 s12, exec_lo, s46
; %bb.23:                               ;   in Loop: Header=BB45_22 Depth=3
	s_and_b32 s11, vcc_lo, exec_lo
; %bb.24:                               ;   in Loop: Header=BB45_22 Depth=3
	s_andn2_saveexec_b32 s12, s12
; %bb.25:                               ;   in Loop: Header=BB45_22 Depth=3
	v_sub_nc_u32_e32 v17, v33, v30
	s_or_b32 s11, s11, exec_lo
	ds_write_b8 v17, v29 offset:8192
; %bb.26:                               ;   in Loop: Header=BB45_22 Depth=3
	s_or_b32 exec_lo, exec_lo, s12
	s_mov_b32 s46, -1
	s_or_b32 s45, s45, exec_lo
                                        ; implicit-def: $vgpr17_vgpr18
	s_and_saveexec_b32 s12, s11
	s_cbranch_execz .LBB45_21
; %bb.27:                               ;   in Loop: Header=BB45_22 Depth=3
	v_add_co_u32 v17, vcc_lo, v15, 16
	v_add_co_ci_u32_e64 v18, null, 0, v16, vcc_lo
	v_add_co_u32 v13, s11, v13, 64
	v_add_co_ci_u32_e64 v14, null, 0, v14, s11
	v_cmp_ge_i64_e32 vcc_lo, v[17:18], v[11:12]
	s_andn2_b32 s45, s45, exec_lo
	s_orn2_b32 s46, vcc_lo, exec_lo
	s_branch .LBB45_21
.LBB45_28:                              ;   in Loop: Header=BB45_16 Depth=2
	s_inst_prefetch 0x2
	s_or_b32 exec_lo, exec_lo, s44
	s_and_saveexec_b32 s11, s43
	s_xor_b32 s11, exec_lo, s11
; %bb.29:                               ;   in Loop: Header=BB45_16 Depth=2
	v_mov_b32_e32 v9, v15
	v_min_i32_e32 v32, v33, v32
	v_mov_b32_e32 v10, v16
; %bb.30:                               ;   in Loop: Header=BB45_16 Depth=2
	s_or_b32 exec_lo, exec_lo, s11
.LBB45_31:                              ;   in Loop: Header=BB45_16 Depth=2
	s_or_b32 exec_lo, exec_lo, s42
	ds_bpermute_b32 v11, v24, v9
	ds_bpermute_b32 v12, v24, v10
	s_waitcnt lgkmcnt(0)
	v_cmp_lt_i64_e32 vcc_lo, v[11:12], v[9:10]
	v_cndmask_b32_e32 v10, v10, v12, vcc_lo
	v_cndmask_b32_e32 v9, v9, v11, vcc_lo
	ds_bpermute_b32 v12, v25, v10
	ds_bpermute_b32 v11, v25, v9
	s_waitcnt lgkmcnt(0)
	v_cmp_lt_i64_e32 vcc_lo, v[11:12], v[9:10]
	v_cndmask_b32_e32 v10, v10, v12, vcc_lo
	v_cndmask_b32_e32 v9, v9, v11, vcc_lo
	;; [unrolled: 6-line block ×3, first 2 shown]
	ds_bpermute_b32 v13, v27, v10
	ds_bpermute_b32 v11, v27, v9
	s_and_saveexec_b32 s12, s1
	s_cbranch_execz .LBB45_15
; %bb.32:                               ;   in Loop: Header=BB45_16 Depth=2
	s_waitcnt lgkmcnt(1)
	v_mov_b32_e32 v12, v13
	v_add_co_u32 v7, s11, s22, v7
	v_add_co_ci_u32_e64 v8, null, s23, v8, s11
	s_waitcnt lgkmcnt(0)
	v_cmp_lt_i64_e32 vcc_lo, v[11:12], v[9:10]
	v_cndmask_b32_e32 v10, v10, v13, vcc_lo
	v_cndmask_b32_e32 v9, v9, v11, vcc_lo
	global_store_dwordx2 v[7:8], v[9:10], off
	s_branch .LBB45_15
.LBB45_33:                              ;   in Loop: Header=BB45_16 Depth=2
                                        ; implicit-def: $vgpr13_vgpr14
	s_branch .LBB45_18
.LBB45_34:                              ;   in Loop: Header=BB45_7 Depth=1
	ds_write_b8 v0, v20 offset:8192
	s_or_b32 exec_lo, exec_lo, s10
	s_and_saveexec_b32 s10, s40
	s_cbranch_execz .LBB45_9
.LBB45_35:                              ;   in Loop: Header=BB45_7 Depth=1
	ds_write_b8 v0, v20 offset:8704
	s_or_b32 exec_lo, exec_lo, s10
	s_and_saveexec_b32 s10, s40
	s_cbranch_execz .LBB45_10
.LBB45_36:                              ;   in Loop: Header=BB45_7 Depth=1
	ds_write_b8 v0, v20 offset:9216
	s_or_b32 exec_lo, exec_lo, s10
	s_and_saveexec_b32 s10, s40
	s_cbranch_execz .LBB45_11
.LBB45_37:                              ;   in Loop: Header=BB45_7 Depth=1
	ds_write_b8 v0, v20 offset:9728
	s_or_b32 exec_lo, exec_lo, s10
	s_and_saveexec_b32 s10, s0
	s_cbranch_execnz .LBB45_12
	s_branch .LBB45_13
.LBB45_38:                              ;   in Loop: Header=BB45_7 Depth=1
	s_or_b32 exec_lo, exec_lo, s41
.LBB45_39:                              ;   in Loop: Header=BB45_7 Depth=1
	s_or_b32 exec_lo, exec_lo, s13
	s_andn2_b32 vcc_lo, exec_lo, s35
	s_cbranch_vccnz .LBB45_53
; %bb.40:                               ;   in Loop: Header=BB45_7 Depth=1
	s_load_dwordx4 s[44:47], s[18:19], 0x0
	s_mov_b32 s41, exec_lo
	s_waitcnt lgkmcnt(0)
	v_add_co_u32 v5, vcc_lo, s44, v21
	v_add_co_ci_u32_e64 v6, null, s45, v22, vcc_lo
	s_sub_u32 s12, s46, s30
	s_subb_u32 s13, s47, 0
	v_cmpx_gt_i64_e64 s[12:13], v[5:6]
	s_cbranch_execz .LBB45_52
; %bb.41:                               ;   in Loop: Header=BB45_7 Depth=1
	v_lshlrev_b64 v[7:8], 2, v[5:6]
	s_mov_b32 s42, 0
                                        ; implicit-def: $sgpr43
                                        ; implicit-def: $sgpr44
	v_add_co_u32 v7, vcc_lo, s16, v7
	v_add_co_ci_u32_e64 v8, null, s17, v8, vcc_lo
	s_inst_prefetch 0x1
	s_branch .LBB45_43
	.p2align	6
.LBB45_42:                              ;   in Loop: Header=BB45_43 Depth=2
	s_or_b32 exec_lo, exec_lo, s11
	s_and_b32 s10, exec_lo, s45
	s_or_b32 s42, s10, s42
	s_andn2_b32 s10, s43, exec_lo
	s_and_b32 s11, s44, exec_lo
	s_or_b32 s43, s10, s11
	s_andn2_b32 exec_lo, exec_lo, s42
	s_cbranch_execz .LBB45_49
.LBB45_43:                              ;   Parent Loop BB45_7 Depth=1
                                        ; =>  This Inner Loop Header: Depth=2
	global_load_dword v9, v[7:8], off
	s_waitcnt vmcnt(0)
	v_subrev_nc_u32_e32 v9, s39, v9
	v_cmp_lt_i32_e64 s10, v9, v30
	v_cmp_ge_i32_e64 s11, v9, v31
	v_cmp_lt_i32_e32 vcc_lo, v9, v31
	s_or_b32 s11, s10, s11
	s_mov_b32 s10, 0
	s_and_saveexec_b32 s45, s11
	s_xor_b32 s11, exec_lo, s45
; %bb.44:                               ;   in Loop: Header=BB45_43 Depth=2
	s_and_b32 s10, vcc_lo, exec_lo
; %bb.45:                               ;   in Loop: Header=BB45_43 Depth=2
	s_andn2_saveexec_b32 s11, s11
; %bb.46:                               ;   in Loop: Header=BB45_43 Depth=2
	v_sub_nc_u32_e32 v10, v9, v30
	s_or_b32 s10, s10, exec_lo
	ds_write_b8 v10, v29 offset:8192
; %bb.47:                               ;   in Loop: Header=BB45_43 Depth=2
	s_or_b32 exec_lo, exec_lo, s11
	s_mov_b32 s45, -1
	s_or_b32 s44, s44, exec_lo
	s_and_saveexec_b32 s11, s10
	s_cbranch_execz .LBB45_42
; %bb.48:                               ;   in Loop: Header=BB45_43 Depth=2
	v_add_co_u32 v5, vcc_lo, 0x200, v5
	v_add_co_ci_u32_e64 v6, null, 0, v6, vcc_lo
	v_add_co_u32 v7, s10, 0x800, v7
	v_add_co_ci_u32_e64 v8, null, 0, v8, s10
	v_cmp_le_i64_e32 vcc_lo, s[12:13], v[5:6]
	s_andn2_b32 s44, s44, exec_lo
	s_orn2_b32 s45, vcc_lo, exec_lo
	s_branch .LBB45_42
.LBB45_49:                              ;   in Loop: Header=BB45_7 Depth=1
	s_inst_prefetch 0x2
	s_or_b32 exec_lo, exec_lo, s42
	s_and_saveexec_b32 s10, s43
	s_xor_b32 s10, exec_lo, s10
; %bb.50:                               ;   in Loop: Header=BB45_7 Depth=1
	v_min_i32_e32 v32, v9, v32
; %bb.51:                               ;   in Loop: Header=BB45_7 Depth=1
	s_or_b32 exec_lo, exec_lo, s10
.LBB45_52:                              ;   in Loop: Header=BB45_7 Depth=1
	s_or_b32 exec_lo, exec_lo, s41
.LBB45_53:                              ;   in Loop: Header=BB45_7 Depth=1
	ds_bpermute_b32 v5, v24, v32
	s_waitcnt lgkmcnt(0)
	v_min_i32_e32 v5, v5, v32
	ds_bpermute_b32 v6, v25, v5
	s_waitcnt lgkmcnt(0)
	v_min_i32_e32 v5, v6, v5
	;; [unrolled: 3-line block ×3, first 2 shown]
	ds_bpermute_b32 v6, v27, v5
	s_and_saveexec_b32 s10, s1
	s_cbranch_execz .LBB45_58
; %bb.54:                               ;   in Loop: Header=BB45_7 Depth=1
	s_waitcnt lgkmcnt(0)
	v_min_i32_e32 v5, v6, v5
	s_mov_b32 s12, exec_lo
	s_brev_b32 s11, -2
.LBB45_55:                              ;   Parent Loop BB45_7 Depth=1
                                        ; =>  This Inner Loop Header: Depth=2
	s_ff1_i32_b32 s13, s12
	v_readlane_b32 s41, v5, s13
	s_lshl_b32 s13, 1, s13
	s_andn2_b32 s12, s12, s13
	s_min_i32 s11, s11, s41
	s_cmp_lg_u32 s12, 0
	s_cbranch_scc1 .LBB45_55
; %bb.56:                               ;   in Loop: Header=BB45_7 Depth=1
	v_mbcnt_lo_u32_b32 v5, exec_lo, 0
	s_mov_b32 s12, exec_lo
	v_cmpx_eq_u32_e32 0, v5
	s_xor_b32 s12, exec_lo, s12
; %bb.57:                               ;   in Loop: Header=BB45_7 Depth=1
	v_mov_b32_e32 v5, s11
	ds_min_i32 v20, v5 offset:10240
.LBB45_58:                              ;   in Loop: Header=BB45_7 Depth=1
	s_or_b32 exec_lo, exec_lo, s10
	v_add_nc_u32_e32 v7, s38, v30
	v_mov_b32_e32 v8, v0
	s_mov_b32 s11, 0
	s_waitcnt lgkmcnt(0)
	s_waitcnt_vscnt null, 0x0
	s_barrier
	buffer_gl0_inv
	s_branch .LBB45_60
.LBB45_59:                              ;   in Loop: Header=BB45_60 Depth=2
	s_or_b32 exec_lo, exec_lo, s10
	s_waitcnt lgkmcnt(0)
	s_waitcnt_vscnt null, 0x0
	s_barrier
	buffer_gl0_inv
	ds_read_b32 v5, v20 offset:28
	v_add_nc_u32_e32 v6, 0x200, v8
	v_cmp_lt_u32_e32 vcc_lo, 0x5ff, v8
	v_mov_b32_e32 v8, v6
	s_or_b32 s11, vcc_lo, s11
	s_waitcnt lgkmcnt(0)
	v_ashrrev_i32_e32 v9, 31, v5
	v_add_co_u32 v3, s10, v3, v5
	v_add_co_ci_u32_e64 v4, null, v4, v9, s10
	s_andn2_b32 exec_lo, exec_lo, s11
	s_cbranch_execz .LBB45_6
.LBB45_60:                              ;   Parent Loop BB45_7 Depth=1
                                        ; =>  This Inner Loop Header: Depth=2
	ds_read_u8 v5, v8 offset:8192
	s_waitcnt lgkmcnt(0)
	s_barrier
	buffer_gl0_inv
	v_cmp_ne_u16_e32 vcc_lo, 0, v5
	s_bcnt1_i32_b32 s10, vcc_lo
	v_mov_b32_e32 v6, s10
	s_mov_b32 s10, exec_lo
	ds_write_b32 v28, v6
	s_waitcnt lgkmcnt(0)
	s_barrier
	buffer_gl0_inv
	ds_read_b128 v[9:12], v20
	ds_read_b96 v[13:15], v20 offset:16
	v_and_b32_e32 v6, vcc_lo, v23
	s_waitcnt lgkmcnt(1)
	v_cndmask_b32_e64 v9, v9, 0, s3
	v_cndmask_b32_e64 v10, v10, 0, s4
	;; [unrolled: 1-line block ×3, first 2 shown]
	v_bcnt_u32_b32 v6, v6, v9
	v_cndmask_b32_e64 v9, v12, 0, s6
	s_waitcnt lgkmcnt(0)
	v_cndmask_b32_e64 v12, v13, 0, s7
	v_add3_u32 v6, v6, v10, v11
	v_cndmask_b32_e64 v10, v14, 0, s8
	v_cndmask_b32_e64 v11, v15, 0, s9
	v_add3_u32 v6, v6, v9, v12
	v_and_b32_e32 v9, 1, v5
	v_add3_u32 v5, v6, v10, v11
	v_cmpx_eq_u32_e32 1, v9
	s_cbranch_execz .LBB45_62
; %bb.61:                               ;   in Loop: Header=BB45_60 Depth=2
	v_ashrrev_i32_e32 v6, 31, v5
	v_lshlrev_b64 v[9:10], 2, v[3:4]
	v_add_nc_u32_e32 v13, v7, v8
	v_lshlrev_b64 v[11:12], 2, v[5:6]
	v_add_co_u32 v6, vcc_lo, s20, v9
	v_add_co_ci_u32_e64 v10, null, s21, v10, vcc_lo
	v_add_co_u32 v9, vcc_lo, v6, v11
	v_add_co_ci_u32_e64 v10, null, v10, v12, vcc_lo
	global_store_dword v[9:10], v13, off offset:-4
.LBB45_62:                              ;   in Loop: Header=BB45_60 Depth=2
	s_or_b32 exec_lo, exec_lo, s10
	s_and_saveexec_b32 s10, s2
	s_cbranch_execz .LBB45_59
; %bb.63:                               ;   in Loop: Header=BB45_60 Depth=2
	ds_write_b32 v20, v5 offset:28
	s_branch .LBB45_59
.LBB45_64:
	s_endpgm
	.section	.rodata,"a",@progbits
	.p2align	6, 0x0
	.amdhsa_kernel _ZN9rocsparseL45csrgemm_symbolic_fill_block_per_row_multipassILj512ELj16ELj2048ELj64EliEEvT4_PKS1_S3_PKT3_S3_S6_S3_S6_S3_S6_PS1_PS4_21rocsparse_index_base_S9_S9_S9_bb
		.amdhsa_group_segment_fixed_size 10244
		.amdhsa_private_segment_fixed_size 0
		.amdhsa_kernarg_size 116
		.amdhsa_user_sgpr_count 6
		.amdhsa_user_sgpr_private_segment_buffer 1
		.amdhsa_user_sgpr_dispatch_ptr 0
		.amdhsa_user_sgpr_queue_ptr 0
		.amdhsa_user_sgpr_kernarg_segment_ptr 1
		.amdhsa_user_sgpr_dispatch_id 0
		.amdhsa_user_sgpr_flat_scratch_init 0
		.amdhsa_user_sgpr_private_segment_size 0
		.amdhsa_wavefront_size32 1
		.amdhsa_uses_dynamic_stack 0
		.amdhsa_system_sgpr_private_segment_wavefront_offset 0
		.amdhsa_system_sgpr_workgroup_id_x 1
		.amdhsa_system_sgpr_workgroup_id_y 0
		.amdhsa_system_sgpr_workgroup_id_z 0
		.amdhsa_system_sgpr_workgroup_info 0
		.amdhsa_system_vgpr_workitem_id 0
		.amdhsa_next_free_vgpr 34
		.amdhsa_next_free_sgpr 48
		.amdhsa_reserve_vcc 1
		.amdhsa_reserve_flat_scratch 0
		.amdhsa_float_round_mode_32 0
		.amdhsa_float_round_mode_16_64 0
		.amdhsa_float_denorm_mode_32 3
		.amdhsa_float_denorm_mode_16_64 3
		.amdhsa_dx10_clamp 1
		.amdhsa_ieee_mode 1
		.amdhsa_fp16_overflow 0
		.amdhsa_workgroup_processor_mode 1
		.amdhsa_memory_ordered 1
		.amdhsa_forward_progress 1
		.amdhsa_shared_vgpr_count 0
		.amdhsa_exception_fp_ieee_invalid_op 0
		.amdhsa_exception_fp_denorm_src 0
		.amdhsa_exception_fp_ieee_div_zero 0
		.amdhsa_exception_fp_ieee_overflow 0
		.amdhsa_exception_fp_ieee_underflow 0
		.amdhsa_exception_fp_ieee_inexact 0
		.amdhsa_exception_int_div_zero 0
	.end_amdhsa_kernel
	.section	.text._ZN9rocsparseL45csrgemm_symbolic_fill_block_per_row_multipassILj512ELj16ELj2048ELj64EliEEvT4_PKS1_S3_PKT3_S3_S6_S3_S6_S3_S6_PS1_PS4_21rocsparse_index_base_S9_S9_S9_bb,"axG",@progbits,_ZN9rocsparseL45csrgemm_symbolic_fill_block_per_row_multipassILj512ELj16ELj2048ELj64EliEEvT4_PKS1_S3_PKT3_S3_S6_S3_S6_S3_S6_PS1_PS4_21rocsparse_index_base_S9_S9_S9_bb,comdat
.Lfunc_end45:
	.size	_ZN9rocsparseL45csrgemm_symbolic_fill_block_per_row_multipassILj512ELj16ELj2048ELj64EliEEvT4_PKS1_S3_PKT3_S3_S6_S3_S6_S3_S6_PS1_PS4_21rocsparse_index_base_S9_S9_S9_bb, .Lfunc_end45-_ZN9rocsparseL45csrgemm_symbolic_fill_block_per_row_multipassILj512ELj16ELj2048ELj64EliEEvT4_PKS1_S3_PKT3_S3_S6_S3_S6_S3_S6_PS1_PS4_21rocsparse_index_base_S9_S9_S9_bb
                                        ; -- End function
	.set _ZN9rocsparseL45csrgemm_symbolic_fill_block_per_row_multipassILj512ELj16ELj2048ELj64EliEEvT4_PKS1_S3_PKT3_S3_S6_S3_S6_S3_S6_PS1_PS4_21rocsparse_index_base_S9_S9_S9_bb.num_vgpr, 34
	.set _ZN9rocsparseL45csrgemm_symbolic_fill_block_per_row_multipassILj512ELj16ELj2048ELj64EliEEvT4_PKS1_S3_PKT3_S3_S6_S3_S6_S3_S6_PS1_PS4_21rocsparse_index_base_S9_S9_S9_bb.num_agpr, 0
	.set _ZN9rocsparseL45csrgemm_symbolic_fill_block_per_row_multipassILj512ELj16ELj2048ELj64EliEEvT4_PKS1_S3_PKT3_S3_S6_S3_S6_S3_S6_PS1_PS4_21rocsparse_index_base_S9_S9_S9_bb.numbered_sgpr, 48
	.set _ZN9rocsparseL45csrgemm_symbolic_fill_block_per_row_multipassILj512ELj16ELj2048ELj64EliEEvT4_PKS1_S3_PKT3_S3_S6_S3_S6_S3_S6_PS1_PS4_21rocsparse_index_base_S9_S9_S9_bb.num_named_barrier, 0
	.set _ZN9rocsparseL45csrgemm_symbolic_fill_block_per_row_multipassILj512ELj16ELj2048ELj64EliEEvT4_PKS1_S3_PKT3_S3_S6_S3_S6_S3_S6_PS1_PS4_21rocsparse_index_base_S9_S9_S9_bb.private_seg_size, 0
	.set _ZN9rocsparseL45csrgemm_symbolic_fill_block_per_row_multipassILj512ELj16ELj2048ELj64EliEEvT4_PKS1_S3_PKT3_S3_S6_S3_S6_S3_S6_PS1_PS4_21rocsparse_index_base_S9_S9_S9_bb.uses_vcc, 1
	.set _ZN9rocsparseL45csrgemm_symbolic_fill_block_per_row_multipassILj512ELj16ELj2048ELj64EliEEvT4_PKS1_S3_PKT3_S3_S6_S3_S6_S3_S6_PS1_PS4_21rocsparse_index_base_S9_S9_S9_bb.uses_flat_scratch, 0
	.set _ZN9rocsparseL45csrgemm_symbolic_fill_block_per_row_multipassILj512ELj16ELj2048ELj64EliEEvT4_PKS1_S3_PKT3_S3_S6_S3_S6_S3_S6_PS1_PS4_21rocsparse_index_base_S9_S9_S9_bb.has_dyn_sized_stack, 0
	.set _ZN9rocsparseL45csrgemm_symbolic_fill_block_per_row_multipassILj512ELj16ELj2048ELj64EliEEvT4_PKS1_S3_PKT3_S3_S6_S3_S6_S3_S6_PS1_PS4_21rocsparse_index_base_S9_S9_S9_bb.has_recursion, 0
	.set _ZN9rocsparseL45csrgemm_symbolic_fill_block_per_row_multipassILj512ELj16ELj2048ELj64EliEEvT4_PKS1_S3_PKT3_S3_S6_S3_S6_S3_S6_PS1_PS4_21rocsparse_index_base_S9_S9_S9_bb.has_indirect_call, 0
	.section	.AMDGPU.csdata,"",@progbits
; Kernel info:
; codeLenInByte = 2560
; TotalNumSgprs: 50
; NumVgprs: 34
; ScratchSize: 0
; MemoryBound: 0
; FloatMode: 240
; IeeeMode: 1
; LDSByteSize: 10244 bytes/workgroup (compile time only)
; SGPRBlocks: 0
; VGPRBlocks: 4
; NumSGPRsForWavesPerEU: 50
; NumVGPRsForWavesPerEU: 34
; Occupancy: 16
; WaveLimiterHint : 1
; COMPUTE_PGM_RSRC2:SCRATCH_EN: 0
; COMPUTE_PGM_RSRC2:USER_SGPR: 6
; COMPUTE_PGM_RSRC2:TRAP_HANDLER: 0
; COMPUTE_PGM_RSRC2:TGID_X_EN: 1
; COMPUTE_PGM_RSRC2:TGID_Y_EN: 0
; COMPUTE_PGM_RSRC2:TGID_Z_EN: 0
; COMPUTE_PGM_RSRC2:TIDIG_COMP_CNT: 0
	.section	.text._ZN9rocsparseL34csrgemm_symbolic_max_row_nnz_part1ILj256EllEEvT1_PKT0_PS1_,"axG",@progbits,_ZN9rocsparseL34csrgemm_symbolic_max_row_nnz_part1ILj256EllEEvT1_PKT0_PS1_,comdat
	.globl	_ZN9rocsparseL34csrgemm_symbolic_max_row_nnz_part1ILj256EllEEvT1_PKT0_PS1_ ; -- Begin function _ZN9rocsparseL34csrgemm_symbolic_max_row_nnz_part1ILj256EllEEvT1_PKT0_PS1_
	.p2align	8
	.type	_ZN9rocsparseL34csrgemm_symbolic_max_row_nnz_part1ILj256EllEEvT1_PKT0_PS1_,@function
_ZN9rocsparseL34csrgemm_symbolic_max_row_nnz_part1ILj256EllEEvT1_PKT0_PS1_: ; @_ZN9rocsparseL34csrgemm_symbolic_max_row_nnz_part1ILj256EllEEvT1_PKT0_PS1_
; %bb.0:
	s_clause 0x1
	s_load_dwordx2 s[8:9], s[4:5], 0x0
	s_load_dwordx2 s[2:3], s[4:5], 0x10
	v_mov_b32_e32 v3, 0
	v_mov_b32_e32 v2, 0
	v_lshl_or_b32 v1, s6, 8, v0
	v_mov_b32_e32 v4, 0
	s_mov_b32 s7, exec_lo
	s_waitcnt lgkmcnt(0)
	v_cmpx_gt_i64_e64 s[8:9], v[1:2]
	s_cbranch_execz .LBB46_4
; %bb.1:
	s_clause 0x1
	s_load_dword s10, s[4:5], 0x18
	s_load_dwordx2 s[0:1], s[4:5], 0x8
	v_lshlrev_b64 v[5:6], 3, v[1:2]
	v_mov_b32_e32 v3, 0
	v_mov_b32_e32 v4, 0
	s_mov_b32 s5, 0
	s_waitcnt lgkmcnt(0)
	s_lshl_b32 s4, s10, 8
	v_add_co_u32 v5, vcc_lo, s0, v5
	v_add_co_ci_u32_e64 v6, null, s1, v6, vcc_lo
	s_lshl_b64 s[10:11], s[4:5], 3
	.p2align	6
.LBB46_2:                               ; =>This Inner Loop Header: Depth=1
	global_load_dwordx4 v[7:10], v[5:6], off
	v_add_co_u32 v1, vcc_lo, v1, s4
	v_add_co_ci_u32_e64 v2, null, 0, v2, vcc_lo
	v_cmp_le_i64_e64 s1, s[8:9], v[1:2]
	s_or_b32 s5, s1, s5
	s_waitcnt vmcnt(0)
	v_sub_co_u32 v7, s0, v9, v7
	v_sub_co_ci_u32_e64 v8, null, v10, v8, s0
	v_add_co_u32 v5, s0, v5, s10
	v_add_co_ci_u32_e64 v6, null, s11, v6, s0
	v_cmp_gt_i64_e32 vcc_lo, v[3:4], v[7:8]
	v_cndmask_b32_e32 v4, v8, v4, vcc_lo
	v_cndmask_b32_e32 v3, v7, v3, vcc_lo
	s_andn2_b32 exec_lo, exec_lo, s5
	s_cbranch_execnz .LBB46_2
; %bb.3:
	s_or_b32 exec_lo, exec_lo, s5
.LBB46_4:
	s_or_b32 exec_lo, exec_lo, s7
	v_lshlrev_b32_e32 v1, 3, v0
	s_mov_b32 s0, exec_lo
	ds_write_b64 v1, v[3:4]
	s_waitcnt lgkmcnt(0)
	s_barrier
	buffer_gl0_inv
	v_cmpx_gt_u32_e32 0x80, v0
	s_cbranch_execz .LBB46_6
; %bb.5:
	ds_read2st64_b64 v[2:5], v1 offset1:2
	s_waitcnt lgkmcnt(0)
	v_cmp_gt_i64_e32 vcc_lo, v[2:3], v[4:5]
	v_cndmask_b32_e32 v3, v5, v3, vcc_lo
	v_cndmask_b32_e32 v2, v4, v2, vcc_lo
	ds_write_b64 v1, v[2:3]
.LBB46_6:
	s_or_b32 exec_lo, exec_lo, s0
	s_mov_b32 s0, exec_lo
	s_waitcnt lgkmcnt(0)
	s_barrier
	buffer_gl0_inv
	v_cmpx_gt_u32_e32 64, v0
	s_cbranch_execz .LBB46_8
; %bb.7:
	ds_read2st64_b64 v[2:5], v1 offset1:1
	s_waitcnt lgkmcnt(0)
	v_cmp_gt_i64_e32 vcc_lo, v[2:3], v[4:5]
	v_cndmask_b32_e32 v3, v5, v3, vcc_lo
	v_cndmask_b32_e32 v2, v4, v2, vcc_lo
	ds_write_b64 v1, v[2:3]
.LBB46_8:
	s_or_b32 exec_lo, exec_lo, s0
	s_mov_b32 s0, exec_lo
	s_waitcnt lgkmcnt(0)
	s_barrier
	buffer_gl0_inv
	v_cmpx_gt_u32_e32 32, v0
	s_cbranch_execz .LBB46_10
; %bb.9:
	ds_read2_b64 v[2:5], v1 offset1:32
	s_waitcnt lgkmcnt(0)
	v_cmp_gt_i64_e32 vcc_lo, v[2:3], v[4:5]
	v_cndmask_b32_e32 v3, v5, v3, vcc_lo
	v_cndmask_b32_e32 v2, v4, v2, vcc_lo
	ds_write_b64 v1, v[2:3]
.LBB46_10:
	s_or_b32 exec_lo, exec_lo, s0
	s_mov_b32 s0, exec_lo
	s_waitcnt lgkmcnt(0)
	s_barrier
	buffer_gl0_inv
	v_cmpx_gt_u32_e32 16, v0
	s_cbranch_execz .LBB46_12
; %bb.11:
	ds_read2_b64 v[2:5], v1 offset1:16
	s_waitcnt lgkmcnt(0)
	v_cmp_gt_i64_e32 vcc_lo, v[2:3], v[4:5]
	v_cndmask_b32_e32 v3, v5, v3, vcc_lo
	v_cndmask_b32_e32 v2, v4, v2, vcc_lo
	ds_write_b64 v1, v[2:3]
.LBB46_12:
	;; [unrolled: 15-line block ×5, first 2 shown]
	s_or_b32 exec_lo, exec_lo, s0
	v_cmp_eq_u32_e32 vcc_lo, 0, v0
	s_waitcnt lgkmcnt(0)
	s_barrier
	buffer_gl0_inv
	s_and_saveexec_b32 s1, vcc_lo
	s_cbranch_execz .LBB46_20
; %bb.19:
	v_mov_b32_e32 v4, 0
	ds_read_b128 v[0:3], v4
	s_waitcnt lgkmcnt(0)
	v_cmp_gt_i64_e64 s0, v[0:1], v[2:3]
	v_cndmask_b32_e64 v1, v3, v1, s0
	v_cndmask_b32_e64 v0, v2, v0, s0
	ds_write_b64 v4, v[0:1]
.LBB46_20:
	s_or_b32 exec_lo, exec_lo, s1
	s_waitcnt lgkmcnt(0)
	s_barrier
	buffer_gl0_inv
	s_and_saveexec_b32 s0, vcc_lo
	s_cbranch_execz .LBB46_22
; %bb.21:
	v_mov_b32_e32 v2, 0
	s_mov_b32 s7, 0
	s_lshl_b64 s[0:1], s[6:7], 3
	s_add_u32 s0, s2, s0
	ds_read_b64 v[0:1], v2
	s_addc_u32 s1, s3, s1
	s_waitcnt lgkmcnt(0)
	global_store_dwordx2 v2, v[0:1], s[0:1]
.LBB46_22:
	s_endpgm
	.section	.rodata,"a",@progbits
	.p2align	6, 0x0
	.amdhsa_kernel _ZN9rocsparseL34csrgemm_symbolic_max_row_nnz_part1ILj256EllEEvT1_PKT0_PS1_
		.amdhsa_group_segment_fixed_size 2048
		.amdhsa_private_segment_fixed_size 0
		.amdhsa_kernarg_size 280
		.amdhsa_user_sgpr_count 6
		.amdhsa_user_sgpr_private_segment_buffer 1
		.amdhsa_user_sgpr_dispatch_ptr 0
		.amdhsa_user_sgpr_queue_ptr 0
		.amdhsa_user_sgpr_kernarg_segment_ptr 1
		.amdhsa_user_sgpr_dispatch_id 0
		.amdhsa_user_sgpr_flat_scratch_init 0
		.amdhsa_user_sgpr_private_segment_size 0
		.amdhsa_wavefront_size32 1
		.amdhsa_uses_dynamic_stack 0
		.amdhsa_system_sgpr_private_segment_wavefront_offset 0
		.amdhsa_system_sgpr_workgroup_id_x 1
		.amdhsa_system_sgpr_workgroup_id_y 0
		.amdhsa_system_sgpr_workgroup_id_z 0
		.amdhsa_system_sgpr_workgroup_info 0
		.amdhsa_system_vgpr_workitem_id 0
		.amdhsa_next_free_vgpr 11
		.amdhsa_next_free_sgpr 12
		.amdhsa_reserve_vcc 1
		.amdhsa_reserve_flat_scratch 0
		.amdhsa_float_round_mode_32 0
		.amdhsa_float_round_mode_16_64 0
		.amdhsa_float_denorm_mode_32 3
		.amdhsa_float_denorm_mode_16_64 3
		.amdhsa_dx10_clamp 1
		.amdhsa_ieee_mode 1
		.amdhsa_fp16_overflow 0
		.amdhsa_workgroup_processor_mode 1
		.amdhsa_memory_ordered 1
		.amdhsa_forward_progress 1
		.amdhsa_shared_vgpr_count 0
		.amdhsa_exception_fp_ieee_invalid_op 0
		.amdhsa_exception_fp_denorm_src 0
		.amdhsa_exception_fp_ieee_div_zero 0
		.amdhsa_exception_fp_ieee_overflow 0
		.amdhsa_exception_fp_ieee_underflow 0
		.amdhsa_exception_fp_ieee_inexact 0
		.amdhsa_exception_int_div_zero 0
	.end_amdhsa_kernel
	.section	.text._ZN9rocsparseL34csrgemm_symbolic_max_row_nnz_part1ILj256EllEEvT1_PKT0_PS1_,"axG",@progbits,_ZN9rocsparseL34csrgemm_symbolic_max_row_nnz_part1ILj256EllEEvT1_PKT0_PS1_,comdat
.Lfunc_end46:
	.size	_ZN9rocsparseL34csrgemm_symbolic_max_row_nnz_part1ILj256EllEEvT1_PKT0_PS1_, .Lfunc_end46-_ZN9rocsparseL34csrgemm_symbolic_max_row_nnz_part1ILj256EllEEvT1_PKT0_PS1_
                                        ; -- End function
	.set _ZN9rocsparseL34csrgemm_symbolic_max_row_nnz_part1ILj256EllEEvT1_PKT0_PS1_.num_vgpr, 11
	.set _ZN9rocsparseL34csrgemm_symbolic_max_row_nnz_part1ILj256EllEEvT1_PKT0_PS1_.num_agpr, 0
	.set _ZN9rocsparseL34csrgemm_symbolic_max_row_nnz_part1ILj256EllEEvT1_PKT0_PS1_.numbered_sgpr, 12
	.set _ZN9rocsparseL34csrgemm_symbolic_max_row_nnz_part1ILj256EllEEvT1_PKT0_PS1_.num_named_barrier, 0
	.set _ZN9rocsparseL34csrgemm_symbolic_max_row_nnz_part1ILj256EllEEvT1_PKT0_PS1_.private_seg_size, 0
	.set _ZN9rocsparseL34csrgemm_symbolic_max_row_nnz_part1ILj256EllEEvT1_PKT0_PS1_.uses_vcc, 1
	.set _ZN9rocsparseL34csrgemm_symbolic_max_row_nnz_part1ILj256EllEEvT1_PKT0_PS1_.uses_flat_scratch, 0
	.set _ZN9rocsparseL34csrgemm_symbolic_max_row_nnz_part1ILj256EllEEvT1_PKT0_PS1_.has_dyn_sized_stack, 0
	.set _ZN9rocsparseL34csrgemm_symbolic_max_row_nnz_part1ILj256EllEEvT1_PKT0_PS1_.has_recursion, 0
	.set _ZN9rocsparseL34csrgemm_symbolic_max_row_nnz_part1ILj256EllEEvT1_PKT0_PS1_.has_indirect_call, 0
	.section	.AMDGPU.csdata,"",@progbits
; Kernel info:
; codeLenInByte = 840
; TotalNumSgprs: 14
; NumVgprs: 11
; ScratchSize: 0
; MemoryBound: 0
; FloatMode: 240
; IeeeMode: 1
; LDSByteSize: 2048 bytes/workgroup (compile time only)
; SGPRBlocks: 0
; VGPRBlocks: 1
; NumSGPRsForWavesPerEU: 14
; NumVGPRsForWavesPerEU: 11
; Occupancy: 16
; WaveLimiterHint : 0
; COMPUTE_PGM_RSRC2:SCRATCH_EN: 0
; COMPUTE_PGM_RSRC2:USER_SGPR: 6
; COMPUTE_PGM_RSRC2:TRAP_HANDLER: 0
; COMPUTE_PGM_RSRC2:TGID_X_EN: 1
; COMPUTE_PGM_RSRC2:TGID_Y_EN: 0
; COMPUTE_PGM_RSRC2:TGID_Z_EN: 0
; COMPUTE_PGM_RSRC2:TIDIG_COMP_CNT: 0
	.section	.text._ZN9rocsparseL34csrgemm_symbolic_max_row_nnz_part2ILj256ElEEvPT0_,"axG",@progbits,_ZN9rocsparseL34csrgemm_symbolic_max_row_nnz_part2ILj256ElEEvPT0_,comdat
	.globl	_ZN9rocsparseL34csrgemm_symbolic_max_row_nnz_part2ILj256ElEEvPT0_ ; -- Begin function _ZN9rocsparseL34csrgemm_symbolic_max_row_nnz_part2ILj256ElEEvPT0_
	.p2align	8
	.type	_ZN9rocsparseL34csrgemm_symbolic_max_row_nnz_part2ILj256ElEEvPT0_,@function
_ZN9rocsparseL34csrgemm_symbolic_max_row_nnz_part2ILj256ElEEvPT0_: ; @_ZN9rocsparseL34csrgemm_symbolic_max_row_nnz_part2ILj256ElEEvPT0_
; %bb.0:
	s_load_dwordx2 s[2:3], s[4:5], 0x0
	v_lshlrev_b32_e32 v1, 3, v0
	s_mov_b32 s0, exec_lo
	s_waitcnt lgkmcnt(0)
	global_load_dwordx2 v[2:3], v1, s[2:3]
	s_waitcnt vmcnt(0)
	ds_write_b64 v1, v[2:3]
	s_waitcnt lgkmcnt(0)
	s_barrier
	buffer_gl0_inv
	v_cmpx_gt_u32_e32 0x80, v0
	s_cbranch_execz .LBB47_2
; %bb.1:
	ds_read2st64_b64 v[2:5], v1 offset1:2
	s_waitcnt lgkmcnt(0)
	v_cmp_gt_i64_e32 vcc_lo, v[2:3], v[4:5]
	v_cndmask_b32_e32 v3, v5, v3, vcc_lo
	v_cndmask_b32_e32 v2, v4, v2, vcc_lo
	ds_write_b64 v1, v[2:3]
.LBB47_2:
	s_or_b32 exec_lo, exec_lo, s0
	s_mov_b32 s0, exec_lo
	s_waitcnt lgkmcnt(0)
	s_barrier
	buffer_gl0_inv
	v_cmpx_gt_u32_e32 64, v0
	s_cbranch_execz .LBB47_4
; %bb.3:
	ds_read2st64_b64 v[2:5], v1 offset1:1
	s_waitcnt lgkmcnt(0)
	v_cmp_gt_i64_e32 vcc_lo, v[2:3], v[4:5]
	v_cndmask_b32_e32 v3, v5, v3, vcc_lo
	v_cndmask_b32_e32 v2, v4, v2, vcc_lo
	ds_write_b64 v1, v[2:3]
.LBB47_4:
	s_or_b32 exec_lo, exec_lo, s0
	s_mov_b32 s0, exec_lo
	s_waitcnt lgkmcnt(0)
	s_barrier
	buffer_gl0_inv
	v_cmpx_gt_u32_e32 32, v0
	s_cbranch_execz .LBB47_6
; %bb.5:
	ds_read2_b64 v[2:5], v1 offset1:32
	s_waitcnt lgkmcnt(0)
	v_cmp_gt_i64_e32 vcc_lo, v[2:3], v[4:5]
	v_cndmask_b32_e32 v3, v5, v3, vcc_lo
	v_cndmask_b32_e32 v2, v4, v2, vcc_lo
	ds_write_b64 v1, v[2:3]
.LBB47_6:
	s_or_b32 exec_lo, exec_lo, s0
	s_mov_b32 s0, exec_lo
	s_waitcnt lgkmcnt(0)
	s_barrier
	buffer_gl0_inv
	v_cmpx_gt_u32_e32 16, v0
	s_cbranch_execz .LBB47_8
; %bb.7:
	ds_read2_b64 v[2:5], v1 offset1:16
	s_waitcnt lgkmcnt(0)
	v_cmp_gt_i64_e32 vcc_lo, v[2:3], v[4:5]
	v_cndmask_b32_e32 v3, v5, v3, vcc_lo
	v_cndmask_b32_e32 v2, v4, v2, vcc_lo
	ds_write_b64 v1, v[2:3]
.LBB47_8:
	;; [unrolled: 15-line block ×5, first 2 shown]
	s_or_b32 exec_lo, exec_lo, s0
	v_cmp_eq_u32_e32 vcc_lo, 0, v0
	s_waitcnt lgkmcnt(0)
	s_barrier
	buffer_gl0_inv
	s_and_saveexec_b32 s1, vcc_lo
	s_cbranch_execz .LBB47_16
; %bb.15:
	v_mov_b32_e32 v4, 0
	ds_read_b128 v[0:3], v4
	s_waitcnt lgkmcnt(0)
	v_cmp_gt_i64_e64 s0, v[0:1], v[2:3]
	v_cndmask_b32_e64 v1, v3, v1, s0
	v_cndmask_b32_e64 v0, v2, v0, s0
	ds_write_b64 v4, v[0:1]
.LBB47_16:
	s_or_b32 exec_lo, exec_lo, s1
	s_waitcnt lgkmcnt(0)
	s_barrier
	buffer_gl0_inv
	s_and_saveexec_b32 s0, vcc_lo
	s_cbranch_execz .LBB47_18
; %bb.17:
	v_mov_b32_e32 v2, 0
	ds_read_b64 v[0:1], v2
	s_waitcnt lgkmcnt(0)
	global_store_dwordx2 v2, v[0:1], s[2:3]
.LBB47_18:
	s_endpgm
	.section	.rodata,"a",@progbits
	.p2align	6, 0x0
	.amdhsa_kernel _ZN9rocsparseL34csrgemm_symbolic_max_row_nnz_part2ILj256ElEEvPT0_
		.amdhsa_group_segment_fixed_size 2048
		.amdhsa_private_segment_fixed_size 0
		.amdhsa_kernarg_size 8
		.amdhsa_user_sgpr_count 6
		.amdhsa_user_sgpr_private_segment_buffer 1
		.amdhsa_user_sgpr_dispatch_ptr 0
		.amdhsa_user_sgpr_queue_ptr 0
		.amdhsa_user_sgpr_kernarg_segment_ptr 1
		.amdhsa_user_sgpr_dispatch_id 0
		.amdhsa_user_sgpr_flat_scratch_init 0
		.amdhsa_user_sgpr_private_segment_size 0
		.amdhsa_wavefront_size32 1
		.amdhsa_uses_dynamic_stack 0
		.amdhsa_system_sgpr_private_segment_wavefront_offset 0
		.amdhsa_system_sgpr_workgroup_id_x 1
		.amdhsa_system_sgpr_workgroup_id_y 0
		.amdhsa_system_sgpr_workgroup_id_z 0
		.amdhsa_system_sgpr_workgroup_info 0
		.amdhsa_system_vgpr_workitem_id 0
		.amdhsa_next_free_vgpr 6
		.amdhsa_next_free_sgpr 6
		.amdhsa_reserve_vcc 1
		.amdhsa_reserve_flat_scratch 0
		.amdhsa_float_round_mode_32 0
		.amdhsa_float_round_mode_16_64 0
		.amdhsa_float_denorm_mode_32 3
		.amdhsa_float_denorm_mode_16_64 3
		.amdhsa_dx10_clamp 1
		.amdhsa_ieee_mode 1
		.amdhsa_fp16_overflow 0
		.amdhsa_workgroup_processor_mode 1
		.amdhsa_memory_ordered 1
		.amdhsa_forward_progress 1
		.amdhsa_shared_vgpr_count 0
		.amdhsa_exception_fp_ieee_invalid_op 0
		.amdhsa_exception_fp_denorm_src 0
		.amdhsa_exception_fp_ieee_div_zero 0
		.amdhsa_exception_fp_ieee_overflow 0
		.amdhsa_exception_fp_ieee_underflow 0
		.amdhsa_exception_fp_ieee_inexact 0
		.amdhsa_exception_int_div_zero 0
	.end_amdhsa_kernel
	.section	.text._ZN9rocsparseL34csrgemm_symbolic_max_row_nnz_part2ILj256ElEEvPT0_,"axG",@progbits,_ZN9rocsparseL34csrgemm_symbolic_max_row_nnz_part2ILj256ElEEvPT0_,comdat
.Lfunc_end47:
	.size	_ZN9rocsparseL34csrgemm_symbolic_max_row_nnz_part2ILj256ElEEvPT0_, .Lfunc_end47-_ZN9rocsparseL34csrgemm_symbolic_max_row_nnz_part2ILj256ElEEvPT0_
                                        ; -- End function
	.set _ZN9rocsparseL34csrgemm_symbolic_max_row_nnz_part2ILj256ElEEvPT0_.num_vgpr, 6
	.set _ZN9rocsparseL34csrgemm_symbolic_max_row_nnz_part2ILj256ElEEvPT0_.num_agpr, 0
	.set _ZN9rocsparseL34csrgemm_symbolic_max_row_nnz_part2ILj256ElEEvPT0_.numbered_sgpr, 6
	.set _ZN9rocsparseL34csrgemm_symbolic_max_row_nnz_part2ILj256ElEEvPT0_.num_named_barrier, 0
	.set _ZN9rocsparseL34csrgemm_symbolic_max_row_nnz_part2ILj256ElEEvPT0_.private_seg_size, 0
	.set _ZN9rocsparseL34csrgemm_symbolic_max_row_nnz_part2ILj256ElEEvPT0_.uses_vcc, 1
	.set _ZN9rocsparseL34csrgemm_symbolic_max_row_nnz_part2ILj256ElEEvPT0_.uses_flat_scratch, 0
	.set _ZN9rocsparseL34csrgemm_symbolic_max_row_nnz_part2ILj256ElEEvPT0_.has_dyn_sized_stack, 0
	.set _ZN9rocsparseL34csrgemm_symbolic_max_row_nnz_part2ILj256ElEEvPT0_.has_recursion, 0
	.set _ZN9rocsparseL34csrgemm_symbolic_max_row_nnz_part2ILj256ElEEvPT0_.has_indirect_call, 0
	.section	.AMDGPU.csdata,"",@progbits
; Kernel info:
; codeLenInByte = 620
; TotalNumSgprs: 8
; NumVgprs: 6
; ScratchSize: 0
; MemoryBound: 0
; FloatMode: 240
; IeeeMode: 1
; LDSByteSize: 2048 bytes/workgroup (compile time only)
; SGPRBlocks: 0
; VGPRBlocks: 0
; NumSGPRsForWavesPerEU: 8
; NumVGPRsForWavesPerEU: 6
; Occupancy: 16
; WaveLimiterHint : 0
; COMPUTE_PGM_RSRC2:SCRATCH_EN: 0
; COMPUTE_PGM_RSRC2:USER_SGPR: 6
; COMPUTE_PGM_RSRC2:TRAP_HANDLER: 0
; COMPUTE_PGM_RSRC2:TGID_X_EN: 1
; COMPUTE_PGM_RSRC2:TGID_Y_EN: 0
; COMPUTE_PGM_RSRC2:TGID_Z_EN: 0
; COMPUTE_PGM_RSRC2:TIDIG_COMP_CNT: 0
	.section	.text._ZN9rocsparseL35csrgemm_symbolic_group_reduce_part2ILj256ELj11EllEEvT2_PKT1_PS1_Pij,"axG",@progbits,_ZN9rocsparseL35csrgemm_symbolic_group_reduce_part2ILj256ELj11EllEEvT2_PKT1_PS1_Pij,comdat
	.globl	_ZN9rocsparseL35csrgemm_symbolic_group_reduce_part2ILj256ELj11EllEEvT2_PKT1_PS1_Pij ; -- Begin function _ZN9rocsparseL35csrgemm_symbolic_group_reduce_part2ILj256ELj11EllEEvT2_PKT1_PS1_Pij
	.p2align	8
	.type	_ZN9rocsparseL35csrgemm_symbolic_group_reduce_part2ILj256ELj11EllEEvT2_PKT1_PS1_Pij,@function
_ZN9rocsparseL35csrgemm_symbolic_group_reduce_part2ILj256ELj11EllEEvT2_PKT1_PS1_Pij: ; @_ZN9rocsparseL35csrgemm_symbolic_group_reduce_part2ILj256ELj11EllEEvT2_PKT1_PS1_Pij
; %bb.0:
	s_clause 0x1
	s_load_dwordx2 s[8:9], s[4:5], 0x0
	s_load_dwordx2 s[2:3], s[4:5], 0x10
	v_mov_b32_e32 v2, 0
	v_lshl_or_b32 v7, s6, 8, v0
	s_mov_b32 s11, 0
	v_mul_u32_u24_e32 v11, 0x58, v0
	s_mov_b32 s10, s11
	v_mov_b32_e32 v1, v2
	s_mov_b32 s1, s11
	s_mov_b32 s0, s11
	v_mov_b32_e32 v3, s10
	v_mov_b32_e32 v6, s1
	;; [unrolled: 1-line block ×4, first 2 shown]
	ds_write_b64 v11, v[1:2] offset:80
	v_mov_b32_e32 v1, v7
	s_mov_b32 s1, exec_lo
	ds_write2_b64 v11, v[3:4], v[5:6] offset1:1
	ds_write2_b64 v11, v[3:4], v[5:6] offset0:2 offset1:3
	ds_write2_b64 v11, v[3:4], v[5:6] offset0:4 offset1:5
	;; [unrolled: 1-line block ×4, first 2 shown]
	s_waitcnt lgkmcnt(0)
	buffer_gl0_inv
	v_cmpx_gt_i64_e64 s[8:9], v[1:2]
	s_cbranch_execz .LBB48_43
; %bb.1:
	s_clause 0x3
	s_load_dword s0, s[4:5], 0x20
	s_load_dwordx2 s[12:13], s[4:5], 0x18
	s_load_dwordx2 s[14:15], s[4:5], 0x8
	s_load_dword s4, s[4:5], 0x28
	v_lshlrev_b64 v[3:4], 2, v[1:2]
	v_lshlrev_b64 v[5:6], 3, v[1:2]
	v_mov_b32_e32 v8, v2
	v_mov_b32_e32 v12, 6
	;; [unrolled: 1-line block ×12, first 2 shown]
	s_waitcnt lgkmcnt(0)
	s_cmpk_lt_u32 s0, 0x8108
	v_add_co_u32 v3, vcc_lo, s12, v3
	s_cselect_b32 s5, -1, 0
	s_cmp_lt_u32 s0, 0x10108
	v_add_co_ci_u32_e64 v4, null, s13, v4, vcc_lo
	s_cselect_b32 s16, -1, 0
	s_cmp_lt_u32 s0, 0x20108
	v_add_co_u32 v5, vcc_lo, s14, v5
	s_cselect_b32 s17, -1, 0
	s_cmp_lt_u32 s0, 0x40108
	v_add_co_ci_u32_e64 v6, null, s15, v6, vcc_lo
	s_cselect_b32 s0, -1, 0
	s_lshl_b32 s10, s4, 8
	s_xor_b32 s7, s5, -1
	s_lshl_b64 s[4:5], s[10:11], 2
	s_lshl_b64 s[12:13], s[10:11], 3
	s_xor_b32 s14, s16, -1
	s_xor_b32 s15, s17, -1
	;; [unrolled: 1-line block ×3, first 2 shown]
	s_branch .LBB48_3
.LBB48_2:                               ;   in Loop: Header=BB48_3 Depth=1
	s_or_b32 exec_lo, exec_lo, s0
	v_add_co_u32 v7, vcc_lo, v7, s10
	v_add_co_ci_u32_e64 v8, null, 0, v8, vcc_lo
	v_add_co_u32 v3, vcc_lo, v3, s4
	v_add_co_ci_u32_e64 v4, null, s5, v4, vcc_lo
	v_cmp_le_i64_e32 vcc_lo, s[8:9], v[7:8]
	v_add_co_u32 v5, s0, v5, s12
	v_add_co_ci_u32_e64 v6, null, s13, v6, s0
	s_or_b32 s11, vcc_lo, s11
	s_andn2_b32 exec_lo, exec_lo, s11
	s_cbranch_execz .LBB48_43
.LBB48_3:                               ; =>This Inner Loop Header: Depth=1
	global_load_dwordx4 v[22:25], v[5:6], off
	s_mov_b32 s0, exec_lo
	s_waitcnt vmcnt(0)
	v_sub_co_u32 v9, vcc_lo, v24, v22
	v_sub_co_ci_u32_e64 v10, null, v25, v23, vcc_lo
	v_cmpx_lt_i64_e32 16, v[9:10]
	s_xor_b32 s0, exec_lo, s0
	s_cbranch_execz .LBB48_41
; %bb.4:                                ;   in Loop: Header=BB48_3 Depth=1
	s_mov_b32 s17, exec_lo
	v_cmpx_lt_u64_e32 32, v[9:10]
	s_xor_b32 s17, exec_lo, s17
	s_cbranch_execz .LBB48_38
; %bb.5:                                ;   in Loop: Header=BB48_3 Depth=1
	s_mov_b32 s18, exec_lo
	v_cmpx_lt_u64_e32 0x100, v[9:10]
	;; [unrolled: 5-line block ×5, first 2 shown]
	s_xor_b32 s21, exec_lo, s21
	s_cbranch_execz .LBB48_26
; %bb.9:                                ;   in Loop: Header=BB48_3 Depth=1
	v_cmp_gt_u64_e32 vcc_lo, 0x1001, v[9:10]
	s_and_b32 s22, s7, vcc_lo
	s_and_saveexec_b32 s23, s22
	s_xor_b32 s22, exec_lo, s23
	s_cbranch_execz .LBB48_11
; %bb.10:                               ;   in Loop: Header=BB48_3 Depth=1
	ds_read_b64 v[9:10], v11 offset:48
	global_store_dword v[3:4], v12, off
	s_waitcnt lgkmcnt(0)
	v_add_co_u32 v9, vcc_lo, v9, 1
	v_add_co_ci_u32_e64 v10, null, 0, v10, vcc_lo
	ds_write_b64 v11, v[9:10] offset:48
                                        ; implicit-def: $vgpr9_vgpr10
.LBB48_11:                              ;   in Loop: Header=BB48_3 Depth=1
	s_andn2_saveexec_b32 s22, s22
	s_cbranch_execz .LBB48_25
; %bb.12:                               ;   in Loop: Header=BB48_3 Depth=1
	v_cmp_gt_u64_e32 vcc_lo, 0x2001, v[9:10]
	s_and_b32 s23, s14, vcc_lo
	s_and_saveexec_b32 s24, s23
	s_xor_b32 s23, exec_lo, s24
	s_cbranch_execz .LBB48_14
; %bb.13:                               ;   in Loop: Header=BB48_3 Depth=1
	ds_read_b64 v[9:10], v11 offset:56
	global_store_dword v[3:4], v13, off
	s_waitcnt lgkmcnt(0)
	v_add_co_u32 v9, vcc_lo, v9, 1
	v_add_co_ci_u32_e64 v10, null, 0, v10, vcc_lo
	ds_write_b64 v11, v[9:10] offset:56
                                        ; implicit-def: $vgpr9_vgpr10
.LBB48_14:                              ;   in Loop: Header=BB48_3 Depth=1
	s_andn2_saveexec_b32 s23, s23
	s_cbranch_execz .LBB48_24
; %bb.15:                               ;   in Loop: Header=BB48_3 Depth=1
	;; [unrolled: 17-line block ×3, first 2 shown]
	v_cmp_gt_u64_e32 vcc_lo, 0x8001, v[9:10]
	s_and_b32 s25, s16, vcc_lo
	s_and_saveexec_b32 s26, s25
	s_xor_b32 s25, exec_lo, s26
	s_cbranch_execz .LBB48_20
; %bb.19:                               ;   in Loop: Header=BB48_3 Depth=1
	ds_read_b64 v[9:10], v11 offset:72
	global_store_dword v[3:4], v15, off
	s_waitcnt lgkmcnt(0)
	v_add_co_u32 v9, vcc_lo, v9, 1
	v_add_co_ci_u32_e64 v10, null, 0, v10, vcc_lo
	ds_write_b64 v11, v[9:10] offset:72
.LBB48_20:                              ;   in Loop: Header=BB48_3 Depth=1
	s_andn2_saveexec_b32 s25, s25
	s_cbranch_execz .LBB48_22
; %bb.21:                               ;   in Loop: Header=BB48_3 Depth=1
	ds_read_b64 v[9:10], v11 offset:80
	global_store_dword v[3:4], v16, off
	s_waitcnt lgkmcnt(0)
	v_add_co_u32 v9, vcc_lo, v9, 1
	v_add_co_ci_u32_e64 v10, null, 0, v10, vcc_lo
	ds_write_b64 v11, v[9:10] offset:80
.LBB48_22:                              ;   in Loop: Header=BB48_3 Depth=1
	s_or_b32 exec_lo, exec_lo, s25
.LBB48_23:                              ;   in Loop: Header=BB48_3 Depth=1
	s_or_b32 exec_lo, exec_lo, s24
.LBB48_24:                              ;   in Loop: Header=BB48_3 Depth=1
	s_or_b32 exec_lo, exec_lo, s23
.LBB48_25:                              ;   in Loop: Header=BB48_3 Depth=1
	s_or_b32 exec_lo, exec_lo, s22
.LBB48_26:                              ;   in Loop: Header=BB48_3 Depth=1
	s_andn2_saveexec_b32 s21, s21
	s_cbranch_execz .LBB48_28
; %bb.27:                               ;   in Loop: Header=BB48_3 Depth=1
	ds_read_b64 v[9:10], v11 offset:40
	global_store_dword v[3:4], v17, off
	s_waitcnt lgkmcnt(0)
	v_add_co_u32 v9, vcc_lo, v9, 1
	v_add_co_ci_u32_e64 v10, null, 0, v10, vcc_lo
	ds_write_b64 v11, v[9:10] offset:40
.LBB48_28:                              ;   in Loop: Header=BB48_3 Depth=1
	s_or_b32 exec_lo, exec_lo, s21
.LBB48_29:                              ;   in Loop: Header=BB48_3 Depth=1
	s_andn2_saveexec_b32 s20, s20
	s_cbranch_execz .LBB48_31
; %bb.30:                               ;   in Loop: Header=BB48_3 Depth=1
	ds_read_b64 v[9:10], v11 offset:32
	global_store_dword v[3:4], v18, off
	s_waitcnt lgkmcnt(0)
	v_add_co_u32 v9, vcc_lo, v9, 1
	v_add_co_ci_u32_e64 v10, null, 0, v10, vcc_lo
	ds_write_b64 v11, v[9:10] offset:32
.LBB48_31:                              ;   in Loop: Header=BB48_3 Depth=1
	s_or_b32 exec_lo, exec_lo, s20
.LBB48_32:                              ;   in Loop: Header=BB48_3 Depth=1
	s_andn2_saveexec_b32 s19, s19
	s_cbranch_execz .LBB48_34
; %bb.33:                               ;   in Loop: Header=BB48_3 Depth=1
	ds_read_b64 v[9:10], v11 offset:24
	global_store_dword v[3:4], v19, off
	s_waitcnt lgkmcnt(0)
	v_add_co_u32 v9, vcc_lo, v9, 1
	v_add_co_ci_u32_e64 v10, null, 0, v10, vcc_lo
	ds_write_b64 v11, v[9:10] offset:24
.LBB48_34:                              ;   in Loop: Header=BB48_3 Depth=1
	s_or_b32 exec_lo, exec_lo, s19
.LBB48_35:                              ;   in Loop: Header=BB48_3 Depth=1
	s_andn2_saveexec_b32 s18, s18
	s_cbranch_execz .LBB48_37
; %bb.36:                               ;   in Loop: Header=BB48_3 Depth=1
	ds_read_b64 v[9:10], v11 offset:16
	global_store_dword v[3:4], v20, off
	s_waitcnt lgkmcnt(0)
	v_add_co_u32 v9, vcc_lo, v9, 1
	v_add_co_ci_u32_e64 v10, null, 0, v10, vcc_lo
	ds_write_b64 v11, v[9:10] offset:16
.LBB48_37:                              ;   in Loop: Header=BB48_3 Depth=1
	s_or_b32 exec_lo, exec_lo, s18
.LBB48_38:                              ;   in Loop: Header=BB48_3 Depth=1
	s_andn2_saveexec_b32 s17, s17
	s_cbranch_execz .LBB48_40
; %bb.39:                               ;   in Loop: Header=BB48_3 Depth=1
	ds_read_b64 v[9:10], v11 offset:8
	global_store_dword v[3:4], v21, off
	s_waitcnt lgkmcnt(0)
	v_add_co_u32 v9, vcc_lo, v9, 1
	v_add_co_ci_u32_e64 v10, null, 0, v10, vcc_lo
	ds_write_b64 v11, v[9:10] offset:8
.LBB48_40:                              ;   in Loop: Header=BB48_3 Depth=1
	s_or_b32 exec_lo, exec_lo, s17
.LBB48_41:                              ;   in Loop: Header=BB48_3 Depth=1
	s_andn2_saveexec_b32 s0, s0
	s_cbranch_execz .LBB48_2
; %bb.42:                               ;   in Loop: Header=BB48_3 Depth=1
	ds_read_b64 v[9:10], v11
	global_store_dword v[3:4], v2, off
	s_waitcnt lgkmcnt(0)
	v_add_co_u32 v9, vcc_lo, v9, 1
	v_add_co_ci_u32_e64 v10, null, 0, v10, vcc_lo
	ds_write_b64 v11, v[9:10]
	s_branch .LBB48_2
.LBB48_43:
	s_or_b32 exec_lo, exec_lo, s1
	s_mov_b32 s0, exec_lo
	s_waitcnt lgkmcnt(0)
	s_waitcnt_vscnt null, 0x0
	s_barrier
	buffer_gl0_inv
	s_barrier
	buffer_gl0_inv
	;; [unrolled: 2-line block ×3, first 2 shown]
	v_cmpx_gt_u32_e32 0x80, v0
	s_cbranch_execz .LBB48_45
; %bb.44:
	v_add_nc_u32_e32 v5, 0x2c00, v11
	v_add_nc_u32_e32 v9, 0x2c10, v11
	;; [unrolled: 1-line block ×4, first 2 shown]
	ds_read2_b64 v[1:4], v11 offset1:1
	ds_read2_b64 v[5:8], v5 offset1:1
	ds_read2_b64 v[12:15], v11 offset0:2 offset1:3
	ds_read2_b64 v[16:19], v9 offset1:1
	v_add_nc_u32_e32 v9, 0x2c20, v11
	ds_read2_b64 v[20:23], v11 offset0:4 offset1:5
	ds_read2_b64 v[24:27], v11 offset0:6 offset1:7
	ds_read2_b64 v[28:31], v9 offset1:1
	ds_read2_b64 v[32:35], v10 offset1:1
	ds_read2_b64 v[36:39], v11 offset0:8 offset1:9
	s_waitcnt lgkmcnt(7)
	v_add_co_u32 v1, vcc_lo, v1, v5
	v_add_co_ci_u32_e64 v2, null, v2, v6, vcc_lo
	v_add_co_u32 v3, vcc_lo, v3, v7
	v_add_co_ci_u32_e64 v4, null, v4, v8, vcc_lo
	v_add_nc_u32_e32 v5, 0x50, v11
	s_waitcnt lgkmcnt(5)
	v_add_co_u32 v9, vcc_lo, v12, v16
	ds_write2_b64 v11, v[1:2], v[3:4] offset1:1
	ds_read2_b64 v[1:4], v40 offset1:1
	ds_read2st64_b64 v[5:8], v5 offset1:22
	v_add_co_ci_u32_e64 v10, null, v13, v17, vcc_lo
	v_add_co_u32 v12, vcc_lo, v14, v18
	v_add_co_ci_u32_e64 v13, null, v15, v19, vcc_lo
	s_waitcnt lgkmcnt(5)
	v_add_co_u32 v14, vcc_lo, v20, v28
	v_add_co_ci_u32_e64 v15, null, v21, v29, vcc_lo
	v_add_co_u32 v16, vcc_lo, v22, v30
	v_add_co_ci_u32_e64 v17, null, v23, v31, vcc_lo
	s_waitcnt lgkmcnt(4)
	v_add_co_u32 v18, vcc_lo, v24, v32
	;; [unrolled: 5-line block ×4, first 2 shown]
	v_add_co_ci_u32_e64 v6, null, v6, v8, vcc_lo
	ds_write2_b64 v11, v[9:10], v[12:13] offset0:2 offset1:3
	ds_write2_b64 v11, v[14:15], v[16:17] offset0:4 offset1:5
	ds_write2_b64 v11, v[18:19], v[20:21] offset0:6 offset1:7
	ds_write2_b64 v11, v[1:2], v[3:4] offset0:8 offset1:9
	ds_write_b64 v11, v[5:6] offset:80
.LBB48_45:
	s_or_b32 exec_lo, exec_lo, s0
	s_mov_b32 s0, exec_lo
	s_waitcnt lgkmcnt(0)
	s_barrier
	buffer_gl0_inv
	v_cmpx_gt_u32_e32 64, v0
	s_cbranch_execz .LBB48_47
; %bb.46:
	v_add_nc_u32_e32 v5, 0x1600, v11
	v_add_nc_u32_e32 v9, 0x1610, v11
	;; [unrolled: 1-line block ×4, first 2 shown]
	ds_read2_b64 v[1:4], v11 offset1:1
	ds_read2_b64 v[5:8], v5 offset1:1
	ds_read2_b64 v[12:15], v11 offset0:2 offset1:3
	ds_read2_b64 v[16:19], v9 offset1:1
	v_add_nc_u32_e32 v9, 0x1620, v11
	ds_read2_b64 v[20:23], v11 offset0:4 offset1:5
	ds_read2_b64 v[24:27], v11 offset0:6 offset1:7
	ds_read2_b64 v[28:31], v9 offset1:1
	ds_read2_b64 v[32:35], v10 offset1:1
	ds_read2_b64 v[36:39], v11 offset0:8 offset1:9
	s_waitcnt lgkmcnt(7)
	v_add_co_u32 v1, vcc_lo, v1, v5
	v_add_co_ci_u32_e64 v2, null, v2, v6, vcc_lo
	v_add_co_u32 v3, vcc_lo, v3, v7
	v_add_co_ci_u32_e64 v4, null, v4, v8, vcc_lo
	v_add_nc_u32_e32 v5, 0x50, v11
	s_waitcnt lgkmcnt(5)
	v_add_co_u32 v9, vcc_lo, v12, v16
	ds_write2_b64 v11, v[1:2], v[3:4] offset1:1
	ds_read2_b64 v[1:4], v40 offset1:1
	ds_read2st64_b64 v[5:8], v5 offset1:11
	v_add_co_ci_u32_e64 v10, null, v13, v17, vcc_lo
	v_add_co_u32 v12, vcc_lo, v14, v18
	v_add_co_ci_u32_e64 v13, null, v15, v19, vcc_lo
	s_waitcnt lgkmcnt(5)
	v_add_co_u32 v14, vcc_lo, v20, v28
	v_add_co_ci_u32_e64 v15, null, v21, v29, vcc_lo
	v_add_co_u32 v16, vcc_lo, v22, v30
	v_add_co_ci_u32_e64 v17, null, v23, v31, vcc_lo
	s_waitcnt lgkmcnt(4)
	v_add_co_u32 v18, vcc_lo, v24, v32
	;; [unrolled: 5-line block ×4, first 2 shown]
	v_add_co_ci_u32_e64 v6, null, v6, v8, vcc_lo
	ds_write2_b64 v11, v[9:10], v[12:13] offset0:2 offset1:3
	ds_write2_b64 v11, v[14:15], v[16:17] offset0:4 offset1:5
	;; [unrolled: 1-line block ×4, first 2 shown]
	ds_write_b64 v11, v[5:6] offset:80
.LBB48_47:
	s_or_b32 exec_lo, exec_lo, s0
	s_mov_b32 s0, exec_lo
	s_waitcnt lgkmcnt(0)
	s_barrier
	buffer_gl0_inv
	v_cmpx_gt_u32_e32 32, v0
	s_cbranch_execz .LBB48_49
; %bb.48:
	v_add_nc_u32_e32 v5, 0xb00, v11
	v_add_nc_u32_e32 v9, 0xb10, v11
	;; [unrolled: 1-line block ×4, first 2 shown]
	ds_read2_b64 v[1:4], v11 offset1:1
	ds_read2_b64 v[5:8], v5 offset1:1
	ds_read2_b64 v[12:15], v11 offset0:2 offset1:3
	ds_read2_b64 v[16:19], v9 offset1:1
	v_add_nc_u32_e32 v9, 0xb20, v11
	ds_read2_b64 v[20:23], v11 offset0:4 offset1:5
	ds_read2_b64 v[24:27], v11 offset0:6 offset1:7
	ds_read2_b64 v[28:31], v11 offset0:8 offset1:9
	ds_read2_b64 v[32:35], v9 offset1:1
	ds_read2_b64 v[36:39], v10 offset1:1
	;; [unrolled: 1-line block ×3, first 2 shown]
	ds_read_b64 v[9:10], v11 offset:2896
	s_waitcnt lgkmcnt(9)
	v_add_co_u32 v1, vcc_lo, v1, v5
	v_add_co_ci_u32_e64 v2, null, v2, v6, vcc_lo
	v_add_co_u32 v3, vcc_lo, v3, v7
	v_add_co_ci_u32_e64 v4, null, v4, v8, vcc_lo
	ds_read_b64 v[7:8], v11 offset:80
	s_waitcnt lgkmcnt(8)
	v_add_co_u32 v5, vcc_lo, v12, v16
	v_add_co_ci_u32_e64 v6, null, v13, v17, vcc_lo
	ds_write2_b64 v11, v[1:2], v[3:4] offset1:1
	v_add_co_u32 v1, vcc_lo, v14, v18
	v_add_co_ci_u32_e64 v2, null, v15, v19, vcc_lo
	s_waitcnt lgkmcnt(5)
	v_add_co_u32 v3, vcc_lo, v20, v32
	v_add_co_ci_u32_e64 v4, null, v21, v33, vcc_lo
	v_add_co_u32 v12, vcc_lo, v22, v34
	v_add_co_ci_u32_e64 v13, null, v23, v35, vcc_lo
	s_waitcnt lgkmcnt(4)
	v_add_co_u32 v14, vcc_lo, v24, v36
	v_add_co_ci_u32_e64 v15, null, v25, v37, vcc_lo
	;; [unrolled: 5-line block ×4, first 2 shown]
	ds_write2_b64 v11, v[5:6], v[1:2] offset0:2 offset1:3
	ds_write2_b64 v11, v[3:4], v[12:13] offset0:4 offset1:5
	;; [unrolled: 1-line block ×4, first 2 shown]
	ds_write_b64 v11, v[7:8] offset:80
.LBB48_49:
	s_or_b32 exec_lo, exec_lo, s0
	s_mov_b32 s0, exec_lo
	s_waitcnt lgkmcnt(0)
	s_barrier
	buffer_gl0_inv
	v_cmpx_gt_u32_e32 16, v0
	s_cbranch_execz .LBB48_51
; %bb.50:
	ds_read2_b64 v[1:4], v11 offset0:176 offset1:177
	ds_read2_b64 v[5:8], v11 offset1:1
	ds_read2_b64 v[12:15], v11 offset0:2 offset1:3
	ds_read2_b64 v[16:19], v11 offset0:178 offset1:179
	ds_read2_b64 v[20:23], v11 offset0:180 offset1:181
	ds_read2_b64 v[24:27], v11 offset0:4 offset1:5
	ds_read2_b64 v[28:31], v11 offset0:6 offset1:7
	ds_read2_b64 v[32:35], v11 offset0:182 offset1:183
	ds_read2_b64 v[36:39], v11 offset0:184 offset1:185
	ds_read2_b64 v[40:43], v11 offset0:8 offset1:9
	s_waitcnt lgkmcnt(8)
	v_add_co_u32 v1, vcc_lo, v5, v1
	v_add_co_ci_u32_e64 v2, null, v6, v2, vcc_lo
	v_add_co_u32 v3, vcc_lo, v7, v3
	v_add_co_ci_u32_e64 v4, null, v8, v4, vcc_lo
	s_waitcnt lgkmcnt(6)
	v_add_co_u32 v5, vcc_lo, v12, v16
	v_add_co_ci_u32_e64 v6, null, v13, v17, vcc_lo
	ds_write2_b64 v11, v[1:2], v[3:4] offset1:1
	ds_read2_b64 v[1:4], v11 offset0:10 offset1:186
	v_add_co_u32 v7, vcc_lo, v14, v18
	v_add_co_ci_u32_e64 v8, null, v15, v19, vcc_lo
	s_waitcnt lgkmcnt(6)
	v_add_co_u32 v9, vcc_lo, v24, v20
	v_add_co_ci_u32_e64 v10, null, v25, v21, vcc_lo
	v_add_co_u32 v12, vcc_lo, v26, v22
	v_add_co_ci_u32_e64 v13, null, v27, v23, vcc_lo
	s_waitcnt lgkmcnt(4)
	v_add_co_u32 v14, vcc_lo, v28, v32
	v_add_co_ci_u32_e64 v15, null, v29, v33, vcc_lo
	v_add_co_u32 v16, vcc_lo, v30, v34
	v_add_co_ci_u32_e64 v17, null, v31, v35, vcc_lo
	s_waitcnt lgkmcnt(2)
	v_add_co_u32 v18, vcc_lo, v40, v36
	v_add_co_ci_u32_e64 v19, null, v41, v37, vcc_lo
	v_add_co_u32 v20, vcc_lo, v42, v38
	v_add_co_ci_u32_e64 v21, null, v43, v39, vcc_lo
	s_waitcnt lgkmcnt(0)
	v_add_co_u32 v1, vcc_lo, v1, v3
	v_add_co_ci_u32_e64 v2, null, v2, v4, vcc_lo
	ds_write2_b64 v11, v[5:6], v[7:8] offset0:2 offset1:3
	ds_write2_b64 v11, v[9:10], v[12:13] offset0:4 offset1:5
	ds_write2_b64 v11, v[14:15], v[16:17] offset0:6 offset1:7
	ds_write2_b64 v11, v[18:19], v[20:21] offset0:8 offset1:9
	ds_write_b64 v11, v[1:2] offset:80
.LBB48_51:
	s_or_b32 exec_lo, exec_lo, s0
	s_mov_b32 s0, exec_lo
	s_waitcnt lgkmcnt(0)
	s_barrier
	buffer_gl0_inv
	v_cmpx_gt_u32_e32 8, v0
	s_cbranch_execz .LBB48_53
; %bb.52:
	ds_read2_b64 v[1:4], v11 offset0:88 offset1:89
	ds_read2_b64 v[5:8], v11 offset1:1
	ds_read2_b64 v[12:15], v11 offset0:2 offset1:3
	ds_read2_b64 v[16:19], v11 offset0:90 offset1:91
	ds_read2_b64 v[20:23], v11 offset0:92 offset1:93
	ds_read2_b64 v[24:27], v11 offset0:4 offset1:5
	ds_read2_b64 v[28:31], v11 offset0:6 offset1:7
	ds_read2_b64 v[32:35], v11 offset0:94 offset1:95
	ds_read2_b64 v[36:39], v11 offset0:96 offset1:97
	ds_read2_b64 v[40:43], v11 offset0:8 offset1:9
	s_waitcnt lgkmcnt(8)
	v_add_co_u32 v1, vcc_lo, v5, v1
	v_add_co_ci_u32_e64 v2, null, v6, v2, vcc_lo
	v_add_co_u32 v3, vcc_lo, v7, v3
	v_add_co_ci_u32_e64 v4, null, v8, v4, vcc_lo
	s_waitcnt lgkmcnt(6)
	v_add_co_u32 v5, vcc_lo, v12, v16
	v_add_co_ci_u32_e64 v6, null, v13, v17, vcc_lo
	ds_write2_b64 v11, v[1:2], v[3:4] offset1:1
	ds_read2_b64 v[1:4], v11 offset0:10 offset1:98
	v_add_co_u32 v7, vcc_lo, v14, v18
	v_add_co_ci_u32_e64 v8, null, v15, v19, vcc_lo
	s_waitcnt lgkmcnt(6)
	v_add_co_u32 v9, vcc_lo, v24, v20
	v_add_co_ci_u32_e64 v10, null, v25, v21, vcc_lo
	v_add_co_u32 v12, vcc_lo, v26, v22
	v_add_co_ci_u32_e64 v13, null, v27, v23, vcc_lo
	s_waitcnt lgkmcnt(4)
	v_add_co_u32 v14, vcc_lo, v28, v32
	v_add_co_ci_u32_e64 v15, null, v29, v33, vcc_lo
	v_add_co_u32 v16, vcc_lo, v30, v34
	v_add_co_ci_u32_e64 v17, null, v31, v35, vcc_lo
	s_waitcnt lgkmcnt(2)
	v_add_co_u32 v18, vcc_lo, v40, v36
	v_add_co_ci_u32_e64 v19, null, v41, v37, vcc_lo
	v_add_co_u32 v20, vcc_lo, v42, v38
	v_add_co_ci_u32_e64 v21, null, v43, v39, vcc_lo
	s_waitcnt lgkmcnt(0)
	v_add_co_u32 v1, vcc_lo, v1, v3
	v_add_co_ci_u32_e64 v2, null, v2, v4, vcc_lo
	ds_write2_b64 v11, v[5:6], v[7:8] offset0:2 offset1:3
	ds_write2_b64 v11, v[9:10], v[12:13] offset0:4 offset1:5
	ds_write2_b64 v11, v[14:15], v[16:17] offset0:6 offset1:7
	ds_write2_b64 v11, v[18:19], v[20:21] offset0:8 offset1:9
	ds_write_b64 v11, v[1:2] offset:80
.LBB48_53:
	;; [unrolled: 54-line block ×4, first 2 shown]
	s_or_b32 exec_lo, exec_lo, s0
	s_mov_b32 s0, exec_lo
	s_waitcnt lgkmcnt(0)
	s_barrier
	buffer_gl0_inv
	v_cmpx_eq_u32_e32 0, v0
	s_cbranch_execz .LBB48_59
; %bb.58:
	v_mov_b32_e32 v45, 0
	ds_read_b128 v[1:4], v45 offset:80
	ds_read_b128 v[5:8], v45
	ds_read_b128 v[9:12], v45 offset:96
	ds_read_b128 v[13:16], v45 offset:16
	;; [unrolled: 1-line block ×9, first 2 shown]
	s_waitcnt lgkmcnt(9)
	v_add_co_u32 v3, vcc_lo, v5, v3
	v_add_co_ci_u32_e64 v4, null, v6, v4, vcc_lo
	s_waitcnt lgkmcnt(8)
	v_add_co_u32 v5, vcc_lo, v7, v9
	v_add_co_ci_u32_e64 v6, null, v8, v10, vcc_lo
	;; [unrolled: 3-line block ×4, first 2 shown]
	ds_write_b128 v45, v[3:6]
	s_waitcnt lgkmcnt(6)
	v_add_co_u32 v3, vcc_lo, v21, v19
	v_add_co_ci_u32_e64 v4, null, v22, v20, vcc_lo
	s_waitcnt lgkmcnt(4)
	v_add_co_u32 v5, vcc_lo, v23, v29
	v_add_co_ci_u32_e64 v6, null, v24, v30, vcc_lo
	v_add_co_u32 v11, vcc_lo, v25, v31
	v_add_co_ci_u32_e64 v12, null, v26, v32, vcc_lo
	s_waitcnt lgkmcnt(3)
	v_add_co_u32 v13, vcc_lo, v27, v33
	v_add_co_ci_u32_e64 v14, null, v28, v34, vcc_lo
	s_waitcnt lgkmcnt(2)
	;; [unrolled: 3-line block ×3, first 2 shown]
	v_add_co_u32 v17, vcc_lo, v39, v41
	v_add_co_ci_u32_e64 v18, null, v40, v42, vcc_lo
	v_add_co_u32 v1, vcc_lo, v1, v43
	v_add_co_ci_u32_e64 v2, null, v2, v44, vcc_lo
	ds_write_b128 v45, v[7:10] offset:16
	ds_write_b128 v45, v[3:6] offset:32
	;; [unrolled: 1-line block ×4, first 2 shown]
	ds_write_b64 v45, v[1:2] offset:80
.LBB48_59:
	s_or_b32 exec_lo, exec_lo, s0
	s_waitcnt lgkmcnt(0)
	s_barrier
	buffer_gl0_inv
	s_mov_b32 s0, exec_lo
	v_cmpx_gt_u32_e32 11, v0
	s_cbranch_execz .LBB48_61
; %bb.60:
	v_lshlrev_b32_e32 v2, 3, v0
	v_mad_u64_u32 v[0:1], null, s6, 11, v[0:1]
	v_mov_b32_e32 v1, 0
	ds_read_b64 v[2:3], v2
	v_lshlrev_b64 v[0:1], 3, v[0:1]
	v_add_co_u32 v0, vcc_lo, s2, v0
	v_add_co_ci_u32_e64 v1, null, s3, v1, vcc_lo
	s_waitcnt lgkmcnt(0)
	global_store_dwordx2 v[0:1], v[2:3], off
.LBB48_61:
	s_endpgm
	.section	.rodata,"a",@progbits
	.p2align	6, 0x0
	.amdhsa_kernel _ZN9rocsparseL35csrgemm_symbolic_group_reduce_part2ILj256ELj11EllEEvT2_PKT1_PS1_Pij
		.amdhsa_group_segment_fixed_size 22528
		.amdhsa_private_segment_fixed_size 0
		.amdhsa_kernarg_size 296
		.amdhsa_user_sgpr_count 6
		.amdhsa_user_sgpr_private_segment_buffer 1
		.amdhsa_user_sgpr_dispatch_ptr 0
		.amdhsa_user_sgpr_queue_ptr 0
		.amdhsa_user_sgpr_kernarg_segment_ptr 1
		.amdhsa_user_sgpr_dispatch_id 0
		.amdhsa_user_sgpr_flat_scratch_init 0
		.amdhsa_user_sgpr_private_segment_size 0
		.amdhsa_wavefront_size32 1
		.amdhsa_uses_dynamic_stack 0
		.amdhsa_system_sgpr_private_segment_wavefront_offset 0
		.amdhsa_system_sgpr_workgroup_id_x 1
		.amdhsa_system_sgpr_workgroup_id_y 0
		.amdhsa_system_sgpr_workgroup_id_z 0
		.amdhsa_system_sgpr_workgroup_info 0
		.amdhsa_system_vgpr_workitem_id 0
		.amdhsa_next_free_vgpr 81
		.amdhsa_next_free_sgpr 27
		.amdhsa_reserve_vcc 1
		.amdhsa_reserve_flat_scratch 0
		.amdhsa_float_round_mode_32 0
		.amdhsa_float_round_mode_16_64 0
		.amdhsa_float_denorm_mode_32 3
		.amdhsa_float_denorm_mode_16_64 3
		.amdhsa_dx10_clamp 1
		.amdhsa_ieee_mode 1
		.amdhsa_fp16_overflow 0
		.amdhsa_workgroup_processor_mode 1
		.amdhsa_memory_ordered 1
		.amdhsa_forward_progress 1
		.amdhsa_shared_vgpr_count 0
		.amdhsa_exception_fp_ieee_invalid_op 0
		.amdhsa_exception_fp_denorm_src 0
		.amdhsa_exception_fp_ieee_div_zero 0
		.amdhsa_exception_fp_ieee_overflow 0
		.amdhsa_exception_fp_ieee_underflow 0
		.amdhsa_exception_fp_ieee_inexact 0
		.amdhsa_exception_int_div_zero 0
	.end_amdhsa_kernel
	.section	.text._ZN9rocsparseL35csrgemm_symbolic_group_reduce_part2ILj256ELj11EllEEvT2_PKT1_PS1_Pij,"axG",@progbits,_ZN9rocsparseL35csrgemm_symbolic_group_reduce_part2ILj256ELj11EllEEvT2_PKT1_PS1_Pij,comdat
.Lfunc_end48:
	.size	_ZN9rocsparseL35csrgemm_symbolic_group_reduce_part2ILj256ELj11EllEEvT2_PKT1_PS1_Pij, .Lfunc_end48-_ZN9rocsparseL35csrgemm_symbolic_group_reduce_part2ILj256ELj11EllEEvT2_PKT1_PS1_Pij
                                        ; -- End function
	.set _ZN9rocsparseL35csrgemm_symbolic_group_reduce_part2ILj256ELj11EllEEvT2_PKT1_PS1_Pij.num_vgpr, 46
	.set _ZN9rocsparseL35csrgemm_symbolic_group_reduce_part2ILj256ELj11EllEEvT2_PKT1_PS1_Pij.num_agpr, 0
	.set _ZN9rocsparseL35csrgemm_symbolic_group_reduce_part2ILj256ELj11EllEEvT2_PKT1_PS1_Pij.numbered_sgpr, 27
	.set _ZN9rocsparseL35csrgemm_symbolic_group_reduce_part2ILj256ELj11EllEEvT2_PKT1_PS1_Pij.num_named_barrier, 0
	.set _ZN9rocsparseL35csrgemm_symbolic_group_reduce_part2ILj256ELj11EllEEvT2_PKT1_PS1_Pij.private_seg_size, 0
	.set _ZN9rocsparseL35csrgemm_symbolic_group_reduce_part2ILj256ELj11EllEEvT2_PKT1_PS1_Pij.uses_vcc, 1
	.set _ZN9rocsparseL35csrgemm_symbolic_group_reduce_part2ILj256ELj11EllEEvT2_PKT1_PS1_Pij.uses_flat_scratch, 0
	.set _ZN9rocsparseL35csrgemm_symbolic_group_reduce_part2ILj256ELj11EllEEvT2_PKT1_PS1_Pij.has_dyn_sized_stack, 0
	.set _ZN9rocsparseL35csrgemm_symbolic_group_reduce_part2ILj256ELj11EllEEvT2_PKT1_PS1_Pij.has_recursion, 0
	.set _ZN9rocsparseL35csrgemm_symbolic_group_reduce_part2ILj256ELj11EllEEvT2_PKT1_PS1_Pij.has_indirect_call, 0
	.section	.AMDGPU.csdata,"",@progbits
; Kernel info:
; codeLenInByte = 4508
; TotalNumSgprs: 29
; NumVgprs: 46
; ScratchSize: 0
; MemoryBound: 0
; FloatMode: 240
; IeeeMode: 1
; LDSByteSize: 22528 bytes/workgroup (compile time only)
; SGPRBlocks: 0
; VGPRBlocks: 10
; NumSGPRsForWavesPerEU: 29
; NumVGPRsForWavesPerEU: 81
; Occupancy: 10
; WaveLimiterHint : 0
; COMPUTE_PGM_RSRC2:SCRATCH_EN: 0
; COMPUTE_PGM_RSRC2:USER_SGPR: 6
; COMPUTE_PGM_RSRC2:TRAP_HANDLER: 0
; COMPUTE_PGM_RSRC2:TGID_X_EN: 1
; COMPUTE_PGM_RSRC2:TGID_Y_EN: 0
; COMPUTE_PGM_RSRC2:TGID_Z_EN: 0
; COMPUTE_PGM_RSRC2:TIDIG_COMP_CNT: 0
	.section	.text._ZN9rocsparseL35csrgemm_symbolic_group_reduce_part3ILj256ELj11ElEEvPT1_,"axG",@progbits,_ZN9rocsparseL35csrgemm_symbolic_group_reduce_part3ILj256ELj11ElEEvPT1_,comdat
	.globl	_ZN9rocsparseL35csrgemm_symbolic_group_reduce_part3ILj256ELj11ElEEvPT1_ ; -- Begin function _ZN9rocsparseL35csrgemm_symbolic_group_reduce_part3ILj256ELj11ElEEvPT1_
	.p2align	8
	.type	_ZN9rocsparseL35csrgemm_symbolic_group_reduce_part3ILj256ELj11ElEEvPT1_,@function
_ZN9rocsparseL35csrgemm_symbolic_group_reduce_part3ILj256ELj11ElEEvPT1_: ; @_ZN9rocsparseL35csrgemm_symbolic_group_reduce_part3ILj256ELj11ElEEvPT1_
; %bb.0:
	s_load_dwordx2 s[2:3], s[4:5], 0x0
	v_lshlrev_b32_e32 v3, 3, v0
	v_or_b32_e32 v4, 0xffffff00, v0
	s_mov_b32 s1, 0
	s_waitcnt lgkmcnt(0)
	v_add_co_u32 v1, s0, s2, v3
	v_add_co_ci_u32_e64 v2, null, s3, 0, s0
	.p2align	6
.LBB49_1:                               ; =>This Inner Loop Header: Depth=1
	global_load_dwordx2 v[5:6], v[1:2], off
	v_add_nc_u32_e32 v4, 0x100, v4
	v_add_co_u32 v1, vcc_lo, 0x800, v1
	v_add_co_ci_u32_e64 v2, null, 0, v2, vcc_lo
	v_cmp_lt_u32_e64 s0, 0x9ff, v4
	s_or_b32 s1, s0, s1
	s_waitcnt vmcnt(0)
	ds_write_b64 v3, v[5:6]
	v_add_nc_u32_e32 v3, 0x800, v3
	s_andn2_b32 exec_lo, exec_lo, s1
	s_cbranch_execnz .LBB49_1
; %bb.2:
	s_or_b32 exec_lo, exec_lo, s1
	v_mul_u32_u24_e32 v1, 0x58, v0
	s_mov_b32 s0, exec_lo
	s_waitcnt lgkmcnt(0)
	s_barrier
	buffer_gl0_inv
	s_barrier
	buffer_gl0_inv
	;; [unrolled: 2-line block ×3, first 2 shown]
	v_cmpx_gt_u32_e32 0x80, v0
	s_cbranch_execz .LBB49_4
; %bb.3:
	s_movk_i32 s1, 0x2c00
	s_movk_i32 s4, 0x2c30
	v_mad_u32_u24 v6, 0x58, v0, s1
	s_movk_i32 s1, 0x2c10
	s_movk_i32 s5, 0x2c40
	v_mad_u32_u24 v14, 0x58, v0, s1
	ds_read2_b64 v[2:5], v1 offset1:1
	ds_read2_b64 v[6:9], v6 offset1:1
	ds_read2_b64 v[10:13], v1 offset0:2 offset1:3
	s_movk_i32 s1, 0x2c20
	v_mad_u32_u24 v30, 0x58, v0, s4
	ds_read2_b64 v[14:17], v14 offset1:1
	v_mad_u32_u24 v26, 0x58, v0, s1
	v_mad_u32_u24 v34, 0x58, v0, s5
	ds_read2_b64 v[18:21], v1 offset0:4 offset1:5
	ds_read2_b64 v[22:25], v1 offset0:6 offset1:7
	ds_read2_b64 v[26:29], v26 offset1:1
	ds_read2_b64 v[30:33], v30 offset1:1
	;; [unrolled: 1-line block ×3, first 2 shown]
	s_waitcnt lgkmcnt(7)
	v_add_co_u32 v2, vcc_lo, v2, v6
	v_add_co_ci_u32_e64 v3, null, v3, v7, vcc_lo
	v_add_co_u32 v4, vcc_lo, v4, v8
	v_add_co_ci_u32_e64 v5, null, v5, v9, vcc_lo
	v_add_nc_u32_e32 v6, 0x50, v1
	s_waitcnt lgkmcnt(5)
	v_add_co_u32 v10, vcc_lo, v10, v14
	ds_write2_b64 v1, v[2:3], v[4:5] offset1:1
	ds_read2_b64 v[2:5], v1 offset0:8 offset1:9
	ds_read2st64_b64 v[6:9], v6 offset1:22
	v_add_co_ci_u32_e64 v11, null, v11, v15, vcc_lo
	v_add_co_u32 v12, vcc_lo, v12, v16
	v_add_co_ci_u32_e64 v13, null, v13, v17, vcc_lo
	s_waitcnt lgkmcnt(5)
	v_add_co_u32 v14, vcc_lo, v18, v26
	v_add_co_ci_u32_e64 v15, null, v19, v27, vcc_lo
	v_add_co_u32 v16, vcc_lo, v20, v28
	v_add_co_ci_u32_e64 v17, null, v21, v29, vcc_lo
	s_waitcnt lgkmcnt(4)
	v_add_co_u32 v18, vcc_lo, v22, v30
	;; [unrolled: 5-line block ×4, first 2 shown]
	v_add_co_ci_u32_e64 v7, null, v7, v9, vcc_lo
	ds_write2_b64 v1, v[10:11], v[12:13] offset0:2 offset1:3
	ds_write2_b64 v1, v[14:15], v[16:17] offset0:4 offset1:5
	;; [unrolled: 1-line block ×4, first 2 shown]
	ds_write_b64 v1, v[6:7] offset:80
.LBB49_4:
	s_or_b32 exec_lo, exec_lo, s0
	s_mov_b32 s0, exec_lo
	s_waitcnt lgkmcnt(0)
	s_barrier
	buffer_gl0_inv
	v_cmpx_gt_u32_e32 64, v0
	s_cbranch_execz .LBB49_6
; %bb.5:
	s_movk_i32 s1, 0x1600
	s_movk_i32 s4, 0x1630
	v_mad_u32_u24 v6, 0x58, v0, s1
	s_movk_i32 s1, 0x1610
	s_movk_i32 s5, 0x1640
	v_mad_u32_u24 v14, 0x58, v0, s1
	ds_read2_b64 v[2:5], v1 offset1:1
	ds_read2_b64 v[6:9], v6 offset1:1
	ds_read2_b64 v[10:13], v1 offset0:2 offset1:3
	s_movk_i32 s1, 0x1620
	v_mad_u32_u24 v30, 0x58, v0, s4
	ds_read2_b64 v[14:17], v14 offset1:1
	v_mad_u32_u24 v26, 0x58, v0, s1
	v_mad_u32_u24 v34, 0x58, v0, s5
	ds_read2_b64 v[18:21], v1 offset0:4 offset1:5
	ds_read2_b64 v[22:25], v1 offset0:6 offset1:7
	ds_read2_b64 v[26:29], v26 offset1:1
	ds_read2_b64 v[30:33], v30 offset1:1
	;; [unrolled: 1-line block ×3, first 2 shown]
	s_waitcnt lgkmcnt(7)
	v_add_co_u32 v2, vcc_lo, v2, v6
	v_add_co_ci_u32_e64 v3, null, v3, v7, vcc_lo
	v_add_co_u32 v4, vcc_lo, v4, v8
	v_add_co_ci_u32_e64 v5, null, v5, v9, vcc_lo
	v_add_nc_u32_e32 v6, 0x50, v1
	s_waitcnt lgkmcnt(5)
	v_add_co_u32 v10, vcc_lo, v10, v14
	ds_write2_b64 v1, v[2:3], v[4:5] offset1:1
	ds_read2_b64 v[2:5], v1 offset0:8 offset1:9
	ds_read2st64_b64 v[6:9], v6 offset1:11
	v_add_co_ci_u32_e64 v11, null, v11, v15, vcc_lo
	v_add_co_u32 v12, vcc_lo, v12, v16
	v_add_co_ci_u32_e64 v13, null, v13, v17, vcc_lo
	s_waitcnt lgkmcnt(5)
	v_add_co_u32 v14, vcc_lo, v18, v26
	v_add_co_ci_u32_e64 v15, null, v19, v27, vcc_lo
	v_add_co_u32 v16, vcc_lo, v20, v28
	v_add_co_ci_u32_e64 v17, null, v21, v29, vcc_lo
	s_waitcnt lgkmcnt(4)
	v_add_co_u32 v18, vcc_lo, v22, v30
	;; [unrolled: 5-line block ×4, first 2 shown]
	v_add_co_ci_u32_e64 v7, null, v7, v9, vcc_lo
	ds_write2_b64 v1, v[10:11], v[12:13] offset0:2 offset1:3
	ds_write2_b64 v1, v[14:15], v[16:17] offset0:4 offset1:5
	ds_write2_b64 v1, v[18:19], v[20:21] offset0:6 offset1:7
	ds_write2_b64 v1, v[2:3], v[4:5] offset0:8 offset1:9
	ds_write_b64 v1, v[6:7] offset:80
.LBB49_6:
	s_or_b32 exec_lo, exec_lo, s0
	s_mov_b32 s0, exec_lo
	s_waitcnt lgkmcnt(0)
	s_barrier
	buffer_gl0_inv
	v_cmpx_gt_u32_e32 32, v0
	s_cbranch_execz .LBB49_8
; %bb.7:
	s_movk_i32 s1, 0xb00
	s_movk_i32 s4, 0xb30
	v_mad_u32_u24 v6, 0x58, v0, s1
	s_movk_i32 s1, 0xb10
	s_movk_i32 s5, 0xb40
	v_mad_u32_u24 v14, 0x58, v0, s1
	ds_read2_b64 v[2:5], v1 offset1:1
	ds_read2_b64 v[6:9], v6 offset1:1
	ds_read2_b64 v[10:13], v1 offset0:2 offset1:3
	s_movk_i32 s1, 0xb20
	v_mad_u32_u24 v30, 0x58, v0, s4
	ds_read2_b64 v[14:17], v14 offset1:1
	v_mad_u32_u24 v26, 0x58, v0, s1
	v_mad_u32_u24 v34, 0x58, v0, s5
	ds_read2_b64 v[18:21], v1 offset0:4 offset1:5
	ds_read2_b64 v[22:25], v1 offset0:6 offset1:7
	ds_read2_b64 v[26:29], v26 offset1:1
	ds_read2_b64 v[30:33], v30 offset1:1
	;; [unrolled: 1-line block ×3, first 2 shown]
	s_waitcnt lgkmcnt(7)
	v_add_co_u32 v2, vcc_lo, v2, v6
	v_add_co_ci_u32_e64 v3, null, v3, v7, vcc_lo
	v_add_co_u32 v4, vcc_lo, v4, v8
	v_add_co_ci_u32_e64 v5, null, v5, v9, vcc_lo
	s_waitcnt lgkmcnt(5)
	v_add_co_u32 v6, vcc_lo, v10, v14
	v_add_co_ci_u32_e64 v7, null, v11, v15, vcc_lo
	ds_write2_b64 v1, v[2:3], v[4:5] offset1:1
	ds_read2_b64 v[2:5], v1 offset0:8 offset1:9
	v_add_co_u32 v8, vcc_lo, v12, v16
	v_add_co_ci_u32_e64 v9, null, v13, v17, vcc_lo
	ds_read_b64 v[12:13], v1 offset:2896
	ds_read_b64 v[14:15], v1 offset:80
	s_waitcnt lgkmcnt(6)
	v_add_co_u32 v10, vcc_lo, v18, v26
	v_add_co_ci_u32_e64 v11, null, v19, v27, vcc_lo
	v_add_co_u32 v16, vcc_lo, v20, v28
	v_add_co_ci_u32_e64 v17, null, v21, v29, vcc_lo
	s_waitcnt lgkmcnt(5)
	v_add_co_u32 v18, vcc_lo, v22, v30
	v_add_co_ci_u32_e64 v19, null, v23, v31, vcc_lo
	v_add_co_u32 v20, vcc_lo, v24, v32
	v_add_co_ci_u32_e64 v21, null, v25, v33, vcc_lo
	;; [unrolled: 5-line block ×3, first 2 shown]
	s_waitcnt lgkmcnt(0)
	v_add_co_u32 v12, vcc_lo, v14, v12
	v_add_co_ci_u32_e64 v13, null, v15, v13, vcc_lo
	ds_write2_b64 v1, v[6:7], v[8:9] offset0:2 offset1:3
	ds_write2_b64 v1, v[10:11], v[16:17] offset0:4 offset1:5
	;; [unrolled: 1-line block ×4, first 2 shown]
	ds_write_b64 v1, v[12:13] offset:80
.LBB49_8:
	s_or_b32 exec_lo, exec_lo, s0
	s_mov_b32 s0, exec_lo
	s_waitcnt lgkmcnt(0)
	s_barrier
	buffer_gl0_inv
	v_cmpx_gt_u32_e32 16, v0
	s_cbranch_execz .LBB49_10
; %bb.9:
	ds_read2_b64 v[2:5], v1 offset0:176 offset1:177
	ds_read2_b64 v[6:9], v1 offset1:1
	ds_read2_b64 v[10:13], v1 offset0:2 offset1:3
	ds_read2_b64 v[14:17], v1 offset0:178 offset1:179
	ds_read2_b64 v[18:21], v1 offset0:180 offset1:181
	ds_read2_b64 v[22:25], v1 offset0:4 offset1:5
	ds_read2_b64 v[26:29], v1 offset0:6 offset1:7
	ds_read2_b64 v[30:33], v1 offset0:182 offset1:183
	ds_read2_b64 v[34:37], v1 offset0:184 offset1:185
	ds_read2_b64 v[38:41], v1 offset0:8 offset1:9
	s_waitcnt lgkmcnt(8)
	v_add_co_u32 v2, vcc_lo, v6, v2
	v_add_co_ci_u32_e64 v3, null, v7, v3, vcc_lo
	v_add_co_u32 v4, vcc_lo, v8, v4
	v_add_co_ci_u32_e64 v5, null, v9, v5, vcc_lo
	s_waitcnt lgkmcnt(6)
	v_add_co_u32 v6, vcc_lo, v10, v14
	v_add_co_ci_u32_e64 v7, null, v11, v15, vcc_lo
	ds_write2_b64 v1, v[2:3], v[4:5] offset1:1
	ds_read2_b64 v[2:5], v1 offset0:10 offset1:186
	v_add_co_u32 v8, vcc_lo, v12, v16
	v_add_co_ci_u32_e64 v9, null, v13, v17, vcc_lo
	s_waitcnt lgkmcnt(6)
	v_add_co_u32 v10, vcc_lo, v22, v18
	v_add_co_ci_u32_e64 v11, null, v23, v19, vcc_lo
	v_add_co_u32 v12, vcc_lo, v24, v20
	v_add_co_ci_u32_e64 v13, null, v25, v21, vcc_lo
	s_waitcnt lgkmcnt(4)
	v_add_co_u32 v14, vcc_lo, v26, v30
	v_add_co_ci_u32_e64 v15, null, v27, v31, vcc_lo
	v_add_co_u32 v16, vcc_lo, v28, v32
	v_add_co_ci_u32_e64 v17, null, v29, v33, vcc_lo
	s_waitcnt lgkmcnt(2)
	v_add_co_u32 v18, vcc_lo, v38, v34
	v_add_co_ci_u32_e64 v19, null, v39, v35, vcc_lo
	v_add_co_u32 v20, vcc_lo, v40, v36
	v_add_co_ci_u32_e64 v21, null, v41, v37, vcc_lo
	s_waitcnt lgkmcnt(0)
	v_add_co_u32 v2, vcc_lo, v2, v4
	v_add_co_ci_u32_e64 v3, null, v3, v5, vcc_lo
	ds_write2_b64 v1, v[6:7], v[8:9] offset0:2 offset1:3
	ds_write2_b64 v1, v[10:11], v[12:13] offset0:4 offset1:5
	ds_write2_b64 v1, v[14:15], v[16:17] offset0:6 offset1:7
	ds_write2_b64 v1, v[18:19], v[20:21] offset0:8 offset1:9
	ds_write_b64 v1, v[2:3] offset:80
.LBB49_10:
	s_or_b32 exec_lo, exec_lo, s0
	s_mov_b32 s0, exec_lo
	s_waitcnt lgkmcnt(0)
	s_barrier
	buffer_gl0_inv
	v_cmpx_gt_u32_e32 8, v0
	s_cbranch_execz .LBB49_12
; %bb.11:
	ds_read2_b64 v[2:5], v1 offset0:88 offset1:89
	ds_read2_b64 v[6:9], v1 offset1:1
	ds_read2_b64 v[10:13], v1 offset0:2 offset1:3
	ds_read2_b64 v[14:17], v1 offset0:90 offset1:91
	ds_read2_b64 v[18:21], v1 offset0:92 offset1:93
	ds_read2_b64 v[22:25], v1 offset0:4 offset1:5
	ds_read2_b64 v[26:29], v1 offset0:6 offset1:7
	ds_read2_b64 v[30:33], v1 offset0:94 offset1:95
	ds_read2_b64 v[34:37], v1 offset0:96 offset1:97
	ds_read2_b64 v[38:41], v1 offset0:8 offset1:9
	s_waitcnt lgkmcnt(8)
	v_add_co_u32 v2, vcc_lo, v6, v2
	v_add_co_ci_u32_e64 v3, null, v7, v3, vcc_lo
	v_add_co_u32 v4, vcc_lo, v8, v4
	v_add_co_ci_u32_e64 v5, null, v9, v5, vcc_lo
	s_waitcnt lgkmcnt(6)
	v_add_co_u32 v6, vcc_lo, v10, v14
	v_add_co_ci_u32_e64 v7, null, v11, v15, vcc_lo
	ds_write2_b64 v1, v[2:3], v[4:5] offset1:1
	ds_read2_b64 v[2:5], v1 offset0:10 offset1:98
	v_add_co_u32 v8, vcc_lo, v12, v16
	v_add_co_ci_u32_e64 v9, null, v13, v17, vcc_lo
	s_waitcnt lgkmcnt(6)
	v_add_co_u32 v10, vcc_lo, v22, v18
	v_add_co_ci_u32_e64 v11, null, v23, v19, vcc_lo
	v_add_co_u32 v12, vcc_lo, v24, v20
	v_add_co_ci_u32_e64 v13, null, v25, v21, vcc_lo
	s_waitcnt lgkmcnt(4)
	v_add_co_u32 v14, vcc_lo, v26, v30
	v_add_co_ci_u32_e64 v15, null, v27, v31, vcc_lo
	v_add_co_u32 v16, vcc_lo, v28, v32
	v_add_co_ci_u32_e64 v17, null, v29, v33, vcc_lo
	s_waitcnt lgkmcnt(2)
	v_add_co_u32 v18, vcc_lo, v38, v34
	v_add_co_ci_u32_e64 v19, null, v39, v35, vcc_lo
	v_add_co_u32 v20, vcc_lo, v40, v36
	v_add_co_ci_u32_e64 v21, null, v41, v37, vcc_lo
	s_waitcnt lgkmcnt(0)
	v_add_co_u32 v2, vcc_lo, v2, v4
	v_add_co_ci_u32_e64 v3, null, v3, v5, vcc_lo
	ds_write2_b64 v1, v[6:7], v[8:9] offset0:2 offset1:3
	ds_write2_b64 v1, v[10:11], v[12:13] offset0:4 offset1:5
	ds_write2_b64 v1, v[14:15], v[16:17] offset0:6 offset1:7
	ds_write2_b64 v1, v[18:19], v[20:21] offset0:8 offset1:9
	ds_write_b64 v1, v[2:3] offset:80
.LBB49_12:
	;; [unrolled: 54-line block ×4, first 2 shown]
	s_or_b32 exec_lo, exec_lo, s0
	s_mov_b32 s0, exec_lo
	s_waitcnt lgkmcnt(0)
	s_barrier
	buffer_gl0_inv
	v_cmpx_eq_u32_e32 0, v0
	s_cbranch_execz .LBB49_18
; %bb.17:
	v_mov_b32_e32 v45, 0
	ds_read_b128 v[1:4], v45 offset:80
	ds_read_b128 v[5:8], v45
	ds_read_b128 v[9:12], v45 offset:96
	ds_read_b128 v[13:16], v45 offset:16
	;; [unrolled: 1-line block ×9, first 2 shown]
	s_waitcnt lgkmcnt(9)
	v_add_co_u32 v3, vcc_lo, v5, v3
	v_add_co_ci_u32_e64 v4, null, v6, v4, vcc_lo
	s_waitcnt lgkmcnt(8)
	v_add_co_u32 v5, vcc_lo, v7, v9
	v_add_co_ci_u32_e64 v6, null, v8, v10, vcc_lo
	;; [unrolled: 3-line block ×4, first 2 shown]
	ds_write_b128 v45, v[3:6]
	s_waitcnt lgkmcnt(6)
	v_add_co_u32 v3, vcc_lo, v21, v19
	v_add_co_ci_u32_e64 v4, null, v22, v20, vcc_lo
	s_waitcnt lgkmcnt(4)
	v_add_co_u32 v5, vcc_lo, v23, v29
	v_add_co_ci_u32_e64 v6, null, v24, v30, vcc_lo
	v_add_co_u32 v11, vcc_lo, v25, v31
	v_add_co_ci_u32_e64 v12, null, v26, v32, vcc_lo
	s_waitcnt lgkmcnt(3)
	v_add_co_u32 v13, vcc_lo, v27, v33
	v_add_co_ci_u32_e64 v14, null, v28, v34, vcc_lo
	s_waitcnt lgkmcnt(2)
	;; [unrolled: 3-line block ×3, first 2 shown]
	v_add_co_u32 v17, vcc_lo, v39, v41
	v_add_co_ci_u32_e64 v18, null, v40, v42, vcc_lo
	v_add_co_u32 v1, vcc_lo, v1, v43
	v_add_co_ci_u32_e64 v2, null, v2, v44, vcc_lo
	ds_write_b128 v45, v[7:10] offset:16
	ds_write_b128 v45, v[3:6] offset:32
	;; [unrolled: 1-line block ×4, first 2 shown]
	ds_write_b64 v45, v[1:2] offset:80
.LBB49_18:
	s_or_b32 exec_lo, exec_lo, s0
	s_waitcnt lgkmcnt(0)
	s_barrier
	buffer_gl0_inv
	s_mov_b32 s0, exec_lo
	v_cmpx_gt_u32_e32 11, v0
	s_cbranch_execz .LBB49_20
; %bb.19:
	v_lshlrev_b32_e32 v2, 3, v0
	ds_read_b64 v[0:1], v2
	s_waitcnt lgkmcnt(0)
	global_store_dwordx2 v2, v[0:1], s[2:3]
.LBB49_20:
	s_endpgm
	.section	.rodata,"a",@progbits
	.p2align	6, 0x0
	.amdhsa_kernel _ZN9rocsparseL35csrgemm_symbolic_group_reduce_part3ILj256ELj11ElEEvPT1_
		.amdhsa_group_segment_fixed_size 22528
		.amdhsa_private_segment_fixed_size 0
		.amdhsa_kernarg_size 8
		.amdhsa_user_sgpr_count 6
		.amdhsa_user_sgpr_private_segment_buffer 1
		.amdhsa_user_sgpr_dispatch_ptr 0
		.amdhsa_user_sgpr_queue_ptr 0
		.amdhsa_user_sgpr_kernarg_segment_ptr 1
		.amdhsa_user_sgpr_dispatch_id 0
		.amdhsa_user_sgpr_flat_scratch_init 0
		.amdhsa_user_sgpr_private_segment_size 0
		.amdhsa_wavefront_size32 1
		.amdhsa_uses_dynamic_stack 0
		.amdhsa_system_sgpr_private_segment_wavefront_offset 0
		.amdhsa_system_sgpr_workgroup_id_x 1
		.amdhsa_system_sgpr_workgroup_id_y 0
		.amdhsa_system_sgpr_workgroup_id_z 0
		.amdhsa_system_sgpr_workgroup_info 0
		.amdhsa_system_vgpr_workitem_id 0
		.amdhsa_next_free_vgpr 81
		.amdhsa_next_free_sgpr 6
		.amdhsa_reserve_vcc 1
		.amdhsa_reserve_flat_scratch 0
		.amdhsa_float_round_mode_32 0
		.amdhsa_float_round_mode_16_64 0
		.amdhsa_float_denorm_mode_32 3
		.amdhsa_float_denorm_mode_16_64 3
		.amdhsa_dx10_clamp 1
		.amdhsa_ieee_mode 1
		.amdhsa_fp16_overflow 0
		.amdhsa_workgroup_processor_mode 1
		.amdhsa_memory_ordered 1
		.amdhsa_forward_progress 1
		.amdhsa_shared_vgpr_count 0
		.amdhsa_exception_fp_ieee_invalid_op 0
		.amdhsa_exception_fp_denorm_src 0
		.amdhsa_exception_fp_ieee_div_zero 0
		.amdhsa_exception_fp_ieee_overflow 0
		.amdhsa_exception_fp_ieee_underflow 0
		.amdhsa_exception_fp_ieee_inexact 0
		.amdhsa_exception_int_div_zero 0
	.end_amdhsa_kernel
	.section	.text._ZN9rocsparseL35csrgemm_symbolic_group_reduce_part3ILj256ELj11ElEEvPT1_,"axG",@progbits,_ZN9rocsparseL35csrgemm_symbolic_group_reduce_part3ILj256ELj11ElEEvPT1_,comdat
.Lfunc_end49:
	.size	_ZN9rocsparseL35csrgemm_symbolic_group_reduce_part3ILj256ELj11ElEEvPT1_, .Lfunc_end49-_ZN9rocsparseL35csrgemm_symbolic_group_reduce_part3ILj256ELj11ElEEvPT1_
                                        ; -- End function
	.set _ZN9rocsparseL35csrgemm_symbolic_group_reduce_part3ILj256ELj11ElEEvPT1_.num_vgpr, 46
	.set _ZN9rocsparseL35csrgemm_symbolic_group_reduce_part3ILj256ELj11ElEEvPT1_.num_agpr, 0
	.set _ZN9rocsparseL35csrgemm_symbolic_group_reduce_part3ILj256ELj11ElEEvPT1_.numbered_sgpr, 6
	.set _ZN9rocsparseL35csrgemm_symbolic_group_reduce_part3ILj256ELj11ElEEvPT1_.num_named_barrier, 0
	.set _ZN9rocsparseL35csrgemm_symbolic_group_reduce_part3ILj256ELj11ElEEvPT1_.private_seg_size, 0
	.set _ZN9rocsparseL35csrgemm_symbolic_group_reduce_part3ILj256ELj11ElEEvPT1_.uses_vcc, 1
	.set _ZN9rocsparseL35csrgemm_symbolic_group_reduce_part3ILj256ELj11ElEEvPT1_.uses_flat_scratch, 0
	.set _ZN9rocsparseL35csrgemm_symbolic_group_reduce_part3ILj256ELj11ElEEvPT1_.has_dyn_sized_stack, 0
	.set _ZN9rocsparseL35csrgemm_symbolic_group_reduce_part3ILj256ELj11ElEEvPT1_.has_recursion, 0
	.set _ZN9rocsparseL35csrgemm_symbolic_group_reduce_part3ILj256ELj11ElEEvPT1_.has_indirect_call, 0
	.section	.AMDGPU.csdata,"",@progbits
; Kernel info:
; codeLenInByte = 3464
; TotalNumSgprs: 8
; NumVgprs: 46
; ScratchSize: 0
; MemoryBound: 1
; FloatMode: 240
; IeeeMode: 1
; LDSByteSize: 22528 bytes/workgroup (compile time only)
; SGPRBlocks: 0
; VGPRBlocks: 10
; NumSGPRsForWavesPerEU: 8
; NumVGPRsForWavesPerEU: 81
; Occupancy: 10
; WaveLimiterHint : 1
; COMPUTE_PGM_RSRC2:SCRATCH_EN: 0
; COMPUTE_PGM_RSRC2:USER_SGPR: 6
; COMPUTE_PGM_RSRC2:TRAP_HANDLER: 0
; COMPUTE_PGM_RSRC2:TGID_X_EN: 1
; COMPUTE_PGM_RSRC2:TGID_Y_EN: 0
; COMPUTE_PGM_RSRC2:TGID_Z_EN: 0
; COMPUTE_PGM_RSRC2:TIDIG_COMP_CNT: 0
	.section	.text._ZN9rocsparseL32csrgemm_symbolic_fill_wf_per_rowILj256ELj8ELj16ELj137EllEEvT4_S1_PKS1_S3_PKT3_S3_S6_S3_S6_S3_S6_PS1_21rocsparse_index_base_S8_S8_S8_bb,"axG",@progbits,_ZN9rocsparseL32csrgemm_symbolic_fill_wf_per_rowILj256ELj8ELj16ELj137EllEEvT4_S1_PKS1_S3_PKT3_S3_S6_S3_S6_S3_S6_PS1_21rocsparse_index_base_S8_S8_S8_bb,comdat
	.globl	_ZN9rocsparseL32csrgemm_symbolic_fill_wf_per_rowILj256ELj8ELj16ELj137EllEEvT4_S1_PKS1_S3_PKT3_S3_S6_S3_S6_S3_S6_PS1_21rocsparse_index_base_S8_S8_S8_bb ; -- Begin function _ZN9rocsparseL32csrgemm_symbolic_fill_wf_per_rowILj256ELj8ELj16ELj137EllEEvT4_S1_PKS1_S3_PKT3_S3_S6_S3_S6_S3_S6_PS1_21rocsparse_index_base_S8_S8_S8_bb
	.p2align	8
	.type	_ZN9rocsparseL32csrgemm_symbolic_fill_wf_per_rowILj256ELj8ELj16ELj137EllEEvT4_S1_PKS1_S3_PKT3_S3_S6_S3_S6_S3_S6_PS1_21rocsparse_index_base_S8_S8_S8_bb,@function
_ZN9rocsparseL32csrgemm_symbolic_fill_wf_per_rowILj256ELj8ELj16ELj137EllEEvT4_S1_PKS1_S3_PKT3_S3_S6_S3_S6_S3_S6_PS1_21rocsparse_index_base_S8_S8_S8_bb: ; @_ZN9rocsparseL32csrgemm_symbolic_fill_wf_per_rowILj256ELj8ELj16ELj137EllEEvT4_S1_PKS1_S3_PKT3_S3_S6_S3_S6_S3_S6_PS1_21rocsparse_index_base_S8_S8_S8_bb
; %bb.0:
	s_load_dwordx8 s[8:15], s[4:5], 0x0
	v_lshrrev_b32_e32 v2, 3, v0
	s_clause 0x1
	s_load_dwordx8 s[16:23], s[4:5], 0x40
	s_load_dwordx8 s[24:31], s[4:5], 0x20
	v_and_b32_e32 v17, 7, v0
	s_mov_b32 s0, 0
	v_lshlrev_b32_e32 v14, 7, v2
	v_or_b32_e32 v16, -8, v17
	v_lshl_or_b32 v15, v17, 3, v14
	v_mov_b32_e32 v4, v16
	v_mov_b32_e32 v3, v15
	s_waitcnt lgkmcnt(0)
	v_mov_b32_e32 v0, s10
	v_mov_b32_e32 v1, s11
.LBB50_1:                               ; =>This Inner Loop Header: Depth=1
	v_add_co_u32 v4, s1, v4, 8
	s_xor_b32 s1, s1, -1
	ds_write_b64 v3, v[0:1]
	v_add_nc_u32_e32 v3, 64, v3
	s_and_b32 s1, exec_lo, s1
	s_or_b32 s0, s1, s0
	s_andn2_b32 exec_lo, exec_lo, s0
	s_cbranch_execnz .LBB50_1
; %bb.2:
	s_or_b32 exec_lo, exec_lo, s0
	s_lshl_b32 s0, s6, 5
	v_mov_b32_e32 v1, 0
	v_and_or_b32 v0, 0x1fffffe0, s0, v2
	s_waitcnt lgkmcnt(0)
	buffer_gl0_inv
	s_mov_b32 s0, exec_lo
	v_cmpx_gt_i64_e64 s[8:9], v[0:1]
	s_cbranch_execz .LBB50_37
; %bb.3:
	s_cmp_eq_u64 s[14:15], 0
	s_cbranch_scc1 .LBB50_5
; %bb.4:
	s_load_dwordx2 s[0:1], s[12:13], 0x0
	v_lshlrev_b32_e32 v0, 3, v0
	s_waitcnt lgkmcnt(0)
	s_lshl_b64 s[0:1], s[0:1], 3
	s_add_u32 s0, s14, s0
	s_addc_u32 s1, s15, s1
	global_load_dwordx2 v[0:1], v0, s[0:1]
.LBB50_5:
	s_clause 0x1
	s_load_dword s6, s[4:5], 0x70
	s_load_dwordx4 s[0:3], s[4:5], 0x60
	s_waitcnt vmcnt(0)
	v_lshlrev_b64 v[4:5], 3, v[0:1]
	s_waitcnt lgkmcnt(0)
	s_bitcmp0_b32 s6, 0
	s_cbranch_scc1 .LBB50_21
; %bb.6:
	v_add_co_u32 v0, vcc_lo, s24, v4
	v_add_co_ci_u32_e64 v1, null, s25, v5, vcc_lo
	v_sub_co_u32 v8, s4, v17, s0
	v_sub_co_ci_u32_e64 v9, null, 0, 0, s4
	global_load_dwordx4 v[0:3], v[0:1], off
	s_mov_b32 s4, exec_lo
	s_waitcnt vmcnt(0)
	v_sub_co_u32 v6, vcc_lo, v2, s0
	v_subrev_co_ci_u32_e64 v7, null, 0, v3, vcc_lo
	v_add_co_u32 v8, vcc_lo, v0, v8
	v_add_co_ci_u32_e64 v9, null, v1, v9, vcc_lo
	v_cmpx_lt_i64_e64 v[8:9], v[6:7]
	s_cbranch_execz .LBB50_20
; %bb.7:
	s_mov_b32 s5, 0
	s_branch .LBB50_9
.LBB50_8:                               ;   in Loop: Header=BB50_9 Depth=1
	s_or_b32 exec_lo, exec_lo, s7
	v_add_co_u32 v8, vcc_lo, v8, 8
	v_add_co_ci_u32_e64 v9, null, 0, v9, vcc_lo
	v_cmp_ge_i64_e32 vcc_lo, v[8:9], v[6:7]
	s_or_b32 s5, vcc_lo, s5
	s_andn2_b32 exec_lo, exec_lo, s5
	s_cbranch_execz .LBB50_20
.LBB50_9:                               ; =>This Loop Header: Depth=1
                                        ;     Child Loop BB50_12 Depth 2
                                        ;       Child Loop BB50_15 Depth 3
	v_lshlrev_b64 v[0:1], 3, v[8:9]
	s_mov_b32 s7, exec_lo
	v_add_co_u32 v0, vcc_lo, s26, v0
	v_add_co_ci_u32_e64 v1, null, s27, v1, vcc_lo
	global_load_dwordx2 v[0:1], v[0:1], off
	s_waitcnt vmcnt(0)
	v_sub_co_u32 v0, vcc_lo, v0, s0
	v_subrev_co_ci_u32_e64 v1, null, 0, v1, vcc_lo
	v_lshlrev_b64 v[0:1], 3, v[0:1]
	v_add_co_u32 v0, vcc_lo, s28, v0
	v_add_co_ci_u32_e64 v1, null, s29, v1, vcc_lo
	global_load_dwordx4 v[0:3], v[0:1], off
	s_waitcnt vmcnt(0)
	v_cmpx_lt_i64_e64 v[0:1], v[2:3]
	s_cbranch_execz .LBB50_8
; %bb.10:                               ;   in Loop: Header=BB50_9 Depth=1
	v_sub_co_u32 v2, vcc_lo, v2, s1
	v_subrev_co_ci_u32_e64 v3, null, 0, v3, vcc_lo
	v_sub_co_u32 v0, vcc_lo, v0, s1
	v_subrev_co_ci_u32_e64 v1, null, 0, v1, vcc_lo
	s_mov_b32 s8, 0
	s_branch .LBB50_12
.LBB50_11:                              ;   in Loop: Header=BB50_12 Depth=2
	s_inst_prefetch 0x2
	s_or_b32 exec_lo, exec_lo, s9
	v_add_co_u32 v0, vcc_lo, v0, 1
	v_add_co_ci_u32_e64 v1, null, 0, v1, vcc_lo
	v_cmp_ge_i64_e32 vcc_lo, v[0:1], v[2:3]
	s_or_b32 s8, vcc_lo, s8
	s_andn2_b32 exec_lo, exec_lo, s8
	s_cbranch_execz .LBB50_8
.LBB50_12:                              ;   Parent Loop BB50_9 Depth=1
                                        ; =>  This Loop Header: Depth=2
                                        ;       Child Loop BB50_15 Depth 3
	v_lshlrev_b64 v[10:11], 3, v[0:1]
	s_mov_b32 s9, 0
                                        ; implicit-def: $sgpr12
	v_add_co_u32 v10, vcc_lo, s30, v10
	v_add_co_ci_u32_e64 v11, null, s31, v11, vcc_lo
	global_load_dwordx2 v[10:11], v[10:11], off
	s_waitcnt vmcnt(0)
	v_sub_co_u32 v10, vcc_lo, v10, s1
	v_subrev_co_ci_u32_e64 v11, null, 0, v11, vcc_lo
	v_lshl_add_u32 v12, v10, 3, v10
	v_and_b32_e32 v18, 15, v12
	s_inst_prefetch 0x1
	s_branch .LBB50_15
	.p2align	6
.LBB50_13:                              ;   in Loop: Header=BB50_15 Depth=3
	s_or_b32 exec_lo, exec_lo, s14
	s_andn2_b32 s12, s12, exec_lo
	s_and_b32 s14, s15, exec_lo
	s_or_b32 s12, s12, s14
.LBB50_14:                              ;   in Loop: Header=BB50_15 Depth=3
	s_or_b32 exec_lo, exec_lo, s13
	s_xor_b32 s13, s12, -1
	s_and_b32 s13, exec_lo, s13
	s_or_b32 s9, s13, s9
	s_andn2_b32 exec_lo, exec_lo, s9
	s_cbranch_execz .LBB50_11
.LBB50_15:                              ;   Parent Loop BB50_9 Depth=1
                                        ;     Parent Loop BB50_12 Depth=2
                                        ; =>    This Inner Loop Header: Depth=3
	v_lshl_add_u32 v19, v18, 3, v14
	s_andn2_b32 s12, s12, exec_lo
	s_mov_b32 s13, exec_lo
	ds_read_b64 v[12:13], v19
	s_waitcnt lgkmcnt(0)
	v_cmpx_ne_u64_e64 v[12:13], v[10:11]
	s_cbranch_execz .LBB50_14
; %bb.16:                               ;   in Loop: Header=BB50_15 Depth=3
	s_mov_b32 s14, exec_lo
	v_cmpx_ne_u64_e64 s[10:11], v[12:13]
	s_xor_b32 s14, exec_lo, s14
; %bb.17:                               ;   in Loop: Header=BB50_15 Depth=3
	v_add_nc_u32_e32 v12, 1, v18
                                        ; implicit-def: $vgpr19
	v_and_b32_e32 v18, 15, v12
; %bb.18:                               ;   in Loop: Header=BB50_15 Depth=3
	s_or_saveexec_b32 s14, s14
	s_mov_b32 s15, -1
	s_xor_b32 exec_lo, exec_lo, s14
	s_cbranch_execz .LBB50_13
; %bb.19:                               ;   in Loop: Header=BB50_15 Depth=3
	v_mov_b32_e32 v13, s11
	v_mov_b32_e32 v12, s10
	ds_cmpst_rtn_b64 v[12:13], v19, v[12:13], v[10:11]
	s_waitcnt lgkmcnt(0)
	v_cmp_ne_u64_e32 vcc_lo, s[10:11], v[12:13]
	s_orn2_b32 s15, vcc_lo, exec_lo
	s_branch .LBB50_13
.LBB50_20:
	s_or_b32 exec_lo, exec_lo, s4
.LBB50_21:
	s_bfe_u32 s0, s6, 0x10008
	s_cmp_eq_u32 s0, 0
	s_cbranch_scc1 .LBB50_24
; %bb.22:
	v_add_co_u32 v0, vcc_lo, s16, v4
	v_add_co_ci_u32_e64 v1, null, s17, v5, vcc_lo
	v_sub_co_u32 v2, s0, v17, s3
	v_sub_co_ci_u32_e64 v3, null, 0, 0, s0
	global_load_dwordx4 v[6:9], v[0:1], off
	s_mov_b32 s0, 0
	s_mov_b32 s1, exec_lo
	s_waitcnt vmcnt(0)
	v_sub_co_u32 v0, vcc_lo, v8, s3
	v_subrev_co_ci_u32_e64 v1, null, 0, v9, vcc_lo
	v_add_co_u32 v2, vcc_lo, v6, v2
	v_add_co_ci_u32_e64 v3, null, v7, v3, vcc_lo
	v_cmpx_lt_i64_e64 v[2:3], v[0:1]
	s_cbranch_execnz .LBB50_29
.LBB50_23:
	s_or_b32 exec_lo, exec_lo, s1
.LBB50_24:
	v_add_co_u32 v0, vcc_lo, s20, v4
	v_add_co_ci_u32_e64 v1, null, s21, v5, vcc_lo
	buffer_gl0_inv
	s_mov_b32 s0, 0
	global_load_dwordx2 v[0:1], v[0:1], off
	s_waitcnt vmcnt(0)
	v_sub_co_u32 v0, vcc_lo, v0, s2
	v_subrev_co_ci_u32_e64 v1, null, 0, v1, vcc_lo
	v_lshlrev_b64 v[0:1], 3, v[0:1]
	v_add_co_u32 v2, vcc_lo, s22, v0
	v_add_co_ci_u32_e64 v3, null, s23, v1, vcc_lo
	s_branch .LBB50_26
.LBB50_25:                              ;   in Loop: Header=BB50_26 Depth=1
	s_or_b32 exec_lo, exec_lo, s1
	v_add_co_u32 v16, s1, v16, 8
	s_xor_b32 s1, s1, -1
	v_add_nc_u32_e32 v15, 64, v15
	s_and_b32 s1, exec_lo, s1
	s_or_b32 s0, s1, s0
	s_andn2_b32 exec_lo, exec_lo, s0
	s_cbranch_execz .LBB50_37
.LBB50_26:                              ; =>This Inner Loop Header: Depth=1
	ds_read_b64 v[0:1], v15
	s_mov_b32 s1, exec_lo
	s_waitcnt lgkmcnt(0)
	v_cmpx_gt_i64_e64 s[10:11], v[0:1]
	s_cbranch_execz .LBB50_25
; %bb.27:                               ;   in Loop: Header=BB50_26 Depth=1
	ds_read_b128 v[4:7], v14
	ds_read_b128 v[8:11], v14 offset:16
	ds_read_b128 v[17:20], v14 offset:32
	;; [unrolled: 1-line block ×7, first 2 shown]
	s_waitcnt lgkmcnt(7)
	v_cmp_gt_i64_e32 vcc_lo, v[0:1], v[4:5]
	v_cndmask_b32_e64 v4, 0, 1, vcc_lo
	v_cmp_gt_i64_e32 vcc_lo, v[0:1], v[6:7]
	v_lshlrev_b32_e32 v4, 3, v4
	v_cndmask_b32_e64 v5, 0, 1, vcc_lo
	s_waitcnt lgkmcnt(6)
	v_cmp_gt_i64_e32 vcc_lo, v[0:1], v[8:9]
	v_lshlrev_b32_e32 v5, 3, v5
	v_cndmask_b32_e64 v6, 0, 1, vcc_lo
	v_cmp_gt_i64_e32 vcc_lo, v[0:1], v[10:11]
	v_lshlrev_b32_e32 v6, 3, v6
	v_cndmask_b32_e64 v7, 0, 1, vcc_lo
	s_waitcnt lgkmcnt(5)
	v_cmp_gt_i64_e32 vcc_lo, v[0:1], v[17:18]
	v_lshlrev_b32_e32 v7, 3, v7
	v_cndmask_b32_e64 v8, 0, 1, vcc_lo
	v_cmp_gt_i64_e32 vcc_lo, v[0:1], v[19:20]
	v_cndmask_b32_e64 v9, 0, 1, vcc_lo
	s_waitcnt lgkmcnt(4)
	v_cmp_gt_i64_e32 vcc_lo, v[0:1], v[21:22]
	v_cndmask_b32_e64 v10, 0, 1, vcc_lo
	v_cmp_gt_i64_e32 vcc_lo, v[0:1], v[23:24]
	v_cndmask_b32_e64 v11, 0, 1, vcc_lo
	s_waitcnt lgkmcnt(3)
	v_cmp_gt_i64_e32 vcc_lo, v[0:1], v[25:26]
	v_cndmask_b32_e64 v12, 0, 1, vcc_lo
	v_add_co_u32 v4, vcc_lo, v2, v4
	v_add_co_ci_u32_e64 v13, null, 0, v3, vcc_lo
	v_add_co_u32 v4, vcc_lo, v4, v5
	v_add_co_ci_u32_e64 v5, null, 0, v13, vcc_lo
	;; [unrolled: 2-line block ×3, first 2 shown]
	v_lshlrev_b32_e32 v6, 3, v8
	v_add_co_u32 v4, vcc_lo, v4, v7
	v_add_co_ci_u32_e64 v5, null, 0, v5, vcc_lo
	v_lshlrev_b32_e32 v7, 3, v9
	v_add_co_u32 v4, vcc_lo, v4, v6
	v_add_co_ci_u32_e64 v5, null, 0, v5, vcc_lo
	;; [unrolled: 3-line block ×4, first 2 shown]
	v_cmp_gt_i64_e32 vcc_lo, v[0:1], v[27:28]
	v_cndmask_b32_e64 v6, 0, 1, vcc_lo
	v_add_co_u32 v4, vcc_lo, v4, v7
	v_add_co_ci_u32_e64 v5, null, 0, v5, vcc_lo
	s_waitcnt lgkmcnt(2)
	v_cmp_gt_i64_e32 vcc_lo, v[0:1], v[29:30]
	v_lshlrev_b32_e32 v7, 3, v12
	v_lshlrev_b32_e32 v6, 3, v6
	v_cndmask_b32_e64 v8, 0, 1, vcc_lo
	v_add_co_u32 v4, vcc_lo, v4, v7
	v_add_co_ci_u32_e64 v5, null, 0, v5, vcc_lo
	v_lshlrev_b32_e32 v7, 3, v8
	v_add_co_u32 v4, vcc_lo, v4, v6
	v_add_co_ci_u32_e64 v5, null, 0, v5, vcc_lo
	v_cmp_gt_i64_e32 vcc_lo, v[0:1], v[31:32]
	v_cndmask_b32_e64 v6, 0, 1, vcc_lo
	v_add_co_u32 v4, vcc_lo, v4, v7
	v_add_co_ci_u32_e64 v5, null, 0, v5, vcc_lo
	s_waitcnt lgkmcnt(1)
	v_cmp_gt_i64_e32 vcc_lo, v[0:1], v[33:34]
	v_lshlrev_b32_e32 v6, 3, v6
	v_cndmask_b32_e64 v7, 0, 1, vcc_lo
	v_cmp_gt_i64_e32 vcc_lo, v[0:1], v[35:36]
	v_cndmask_b32_e64 v8, 0, 1, vcc_lo
	v_add_co_u32 v4, vcc_lo, v4, v6
	v_add_co_ci_u32_e64 v5, null, 0, v5, vcc_lo
	s_waitcnt lgkmcnt(0)
	v_cmp_gt_i64_e32 vcc_lo, v[0:1], v[37:38]
	v_lshlrev_b32_e32 v6, 3, v7
	v_lshlrev_b32_e32 v7, 3, v8
	v_cndmask_b32_e64 v8, 0, 1, vcc_lo
	v_add_co_u32 v4, vcc_lo, v4, v6
	v_add_co_ci_u32_e64 v5, null, 0, v5, vcc_lo
	v_lshlrev_b32_e32 v6, 3, v8
	v_add_co_u32 v4, vcc_lo, v4, v7
	v_add_co_ci_u32_e64 v5, null, 0, v5, vcc_lo
	v_cmp_gt_i64_e32 vcc_lo, v[0:1], v[39:40]
	v_cndmask_b32_e64 v7, 0, 1, vcc_lo
	v_add_co_u32 v4, vcc_lo, v4, v6
	v_add_co_ci_u32_e64 v5, null, 0, v5, vcc_lo
	v_lshlrev_b32_e32 v6, 3, v7
	v_add_co_u32 v0, vcc_lo, v0, s2
	v_add_co_ci_u32_e64 v1, null, 0, v1, vcc_lo
	v_add_co_u32 v4, vcc_lo, v4, v6
	v_add_co_ci_u32_e64 v5, null, 0, v5, vcc_lo
	global_store_dwordx2 v[4:5], v[0:1], off
	s_branch .LBB50_25
.LBB50_28:                              ;   in Loop: Header=BB50_29 Depth=1
	s_inst_prefetch 0x2
	s_or_b32 exec_lo, exec_lo, s4
	v_add_co_u32 v2, vcc_lo, v2, 8
	v_add_co_ci_u32_e64 v3, null, 0, v3, vcc_lo
	v_cmp_ge_i64_e32 vcc_lo, v[2:3], v[0:1]
	s_or_b32 s0, vcc_lo, s0
	s_andn2_b32 exec_lo, exec_lo, s0
	s_cbranch_execz .LBB50_23
.LBB50_29:                              ; =>This Loop Header: Depth=1
                                        ;     Child Loop BB50_32 Depth 2
	v_lshlrev_b64 v[6:7], 3, v[2:3]
	s_mov_b32 s4, 0
                                        ; implicit-def: $sgpr5
	v_add_co_u32 v6, vcc_lo, s18, v6
	v_add_co_ci_u32_e64 v7, null, s19, v7, vcc_lo
	global_load_dwordx2 v[6:7], v[6:7], off
	s_waitcnt vmcnt(0)
	v_sub_co_u32 v6, vcc_lo, v6, s3
	v_subrev_co_ci_u32_e64 v7, null, 0, v7, vcc_lo
	v_lshl_add_u32 v8, v6, 3, v6
	v_and_b32_e32 v10, 15, v8
	s_inst_prefetch 0x1
	s_branch .LBB50_32
	.p2align	6
.LBB50_30:                              ;   in Loop: Header=BB50_32 Depth=2
	s_or_b32 exec_lo, exec_lo, s7
	s_andn2_b32 s5, s5, exec_lo
	s_and_b32 s7, s8, exec_lo
	s_or_b32 s5, s5, s7
.LBB50_31:                              ;   in Loop: Header=BB50_32 Depth=2
	s_or_b32 exec_lo, exec_lo, s6
	s_xor_b32 s6, s5, -1
	s_and_b32 s6, exec_lo, s6
	s_or_b32 s4, s6, s4
	s_andn2_b32 exec_lo, exec_lo, s4
	s_cbranch_execz .LBB50_28
.LBB50_32:                              ;   Parent Loop BB50_29 Depth=1
                                        ; =>  This Inner Loop Header: Depth=2
	v_lshl_add_u32 v11, v10, 3, v14
	s_andn2_b32 s5, s5, exec_lo
	s_mov_b32 s6, exec_lo
	ds_read_b64 v[8:9], v11
	s_waitcnt lgkmcnt(0)
	v_cmpx_ne_u64_e64 v[8:9], v[6:7]
	s_cbranch_execz .LBB50_31
; %bb.33:                               ;   in Loop: Header=BB50_32 Depth=2
	s_mov_b32 s7, exec_lo
	v_cmpx_ne_u64_e64 s[10:11], v[8:9]
	s_xor_b32 s7, exec_lo, s7
; %bb.34:                               ;   in Loop: Header=BB50_32 Depth=2
	v_add_nc_u32_e32 v8, 1, v10
                                        ; implicit-def: $vgpr11
	v_and_b32_e32 v10, 15, v8
; %bb.35:                               ;   in Loop: Header=BB50_32 Depth=2
	s_or_saveexec_b32 s7, s7
	s_mov_b32 s8, -1
	s_xor_b32 exec_lo, exec_lo, s7
	s_cbranch_execz .LBB50_30
; %bb.36:                               ;   in Loop: Header=BB50_32 Depth=2
	v_mov_b32_e32 v8, s10
	v_mov_b32_e32 v9, s11
	ds_cmpst_rtn_b64 v[8:9], v11, v[8:9], v[6:7]
	s_waitcnt lgkmcnt(0)
	v_cmp_ne_u64_e32 vcc_lo, s[10:11], v[8:9]
	s_orn2_b32 s8, vcc_lo, exec_lo
	s_branch .LBB50_30
.LBB50_37:
	s_endpgm
	.section	.rodata,"a",@progbits
	.p2align	6, 0x0
	.amdhsa_kernel _ZN9rocsparseL32csrgemm_symbolic_fill_wf_per_rowILj256ELj8ELj16ELj137EllEEvT4_S1_PKS1_S3_PKT3_S3_S6_S3_S6_S3_S6_PS1_21rocsparse_index_base_S8_S8_S8_bb
		.amdhsa_group_segment_fixed_size 4096
		.amdhsa_private_segment_fixed_size 0
		.amdhsa_kernarg_size 116
		.amdhsa_user_sgpr_count 6
		.amdhsa_user_sgpr_private_segment_buffer 1
		.amdhsa_user_sgpr_dispatch_ptr 0
		.amdhsa_user_sgpr_queue_ptr 0
		.amdhsa_user_sgpr_kernarg_segment_ptr 1
		.amdhsa_user_sgpr_dispatch_id 0
		.amdhsa_user_sgpr_flat_scratch_init 0
		.amdhsa_user_sgpr_private_segment_size 0
		.amdhsa_wavefront_size32 1
		.amdhsa_uses_dynamic_stack 0
		.amdhsa_system_sgpr_private_segment_wavefront_offset 0
		.amdhsa_system_sgpr_workgroup_id_x 1
		.amdhsa_system_sgpr_workgroup_id_y 0
		.amdhsa_system_sgpr_workgroup_id_z 0
		.amdhsa_system_sgpr_workgroup_info 0
		.amdhsa_system_vgpr_workitem_id 0
		.amdhsa_next_free_vgpr 41
		.amdhsa_next_free_sgpr 32
		.amdhsa_reserve_vcc 1
		.amdhsa_reserve_flat_scratch 0
		.amdhsa_float_round_mode_32 0
		.amdhsa_float_round_mode_16_64 0
		.amdhsa_float_denorm_mode_32 3
		.amdhsa_float_denorm_mode_16_64 3
		.amdhsa_dx10_clamp 1
		.amdhsa_ieee_mode 1
		.amdhsa_fp16_overflow 0
		.amdhsa_workgroup_processor_mode 1
		.amdhsa_memory_ordered 1
		.amdhsa_forward_progress 1
		.amdhsa_shared_vgpr_count 0
		.amdhsa_exception_fp_ieee_invalid_op 0
		.amdhsa_exception_fp_denorm_src 0
		.amdhsa_exception_fp_ieee_div_zero 0
		.amdhsa_exception_fp_ieee_overflow 0
		.amdhsa_exception_fp_ieee_underflow 0
		.amdhsa_exception_fp_ieee_inexact 0
		.amdhsa_exception_int_div_zero 0
	.end_amdhsa_kernel
	.section	.text._ZN9rocsparseL32csrgemm_symbolic_fill_wf_per_rowILj256ELj8ELj16ELj137EllEEvT4_S1_PKS1_S3_PKT3_S3_S6_S3_S6_S3_S6_PS1_21rocsparse_index_base_S8_S8_S8_bb,"axG",@progbits,_ZN9rocsparseL32csrgemm_symbolic_fill_wf_per_rowILj256ELj8ELj16ELj137EllEEvT4_S1_PKS1_S3_PKT3_S3_S6_S3_S6_S3_S6_PS1_21rocsparse_index_base_S8_S8_S8_bb,comdat
.Lfunc_end50:
	.size	_ZN9rocsparseL32csrgemm_symbolic_fill_wf_per_rowILj256ELj8ELj16ELj137EllEEvT4_S1_PKS1_S3_PKT3_S3_S6_S3_S6_S3_S6_PS1_21rocsparse_index_base_S8_S8_S8_bb, .Lfunc_end50-_ZN9rocsparseL32csrgemm_symbolic_fill_wf_per_rowILj256ELj8ELj16ELj137EllEEvT4_S1_PKS1_S3_PKT3_S3_S6_S3_S6_S3_S6_PS1_21rocsparse_index_base_S8_S8_S8_bb
                                        ; -- End function
	.set _ZN9rocsparseL32csrgemm_symbolic_fill_wf_per_rowILj256ELj8ELj16ELj137EllEEvT4_S1_PKS1_S3_PKT3_S3_S6_S3_S6_S3_S6_PS1_21rocsparse_index_base_S8_S8_S8_bb.num_vgpr, 41
	.set _ZN9rocsparseL32csrgemm_symbolic_fill_wf_per_rowILj256ELj8ELj16ELj137EllEEvT4_S1_PKS1_S3_PKT3_S3_S6_S3_S6_S3_S6_PS1_21rocsparse_index_base_S8_S8_S8_bb.num_agpr, 0
	.set _ZN9rocsparseL32csrgemm_symbolic_fill_wf_per_rowILj256ELj8ELj16ELj137EllEEvT4_S1_PKS1_S3_PKT3_S3_S6_S3_S6_S3_S6_PS1_21rocsparse_index_base_S8_S8_S8_bb.numbered_sgpr, 32
	.set _ZN9rocsparseL32csrgemm_symbolic_fill_wf_per_rowILj256ELj8ELj16ELj137EllEEvT4_S1_PKS1_S3_PKT3_S3_S6_S3_S6_S3_S6_PS1_21rocsparse_index_base_S8_S8_S8_bb.num_named_barrier, 0
	.set _ZN9rocsparseL32csrgemm_symbolic_fill_wf_per_rowILj256ELj8ELj16ELj137EllEEvT4_S1_PKS1_S3_PKT3_S3_S6_S3_S6_S3_S6_PS1_21rocsparse_index_base_S8_S8_S8_bb.private_seg_size, 0
	.set _ZN9rocsparseL32csrgemm_symbolic_fill_wf_per_rowILj256ELj8ELj16ELj137EllEEvT4_S1_PKS1_S3_PKT3_S3_S6_S3_S6_S3_S6_PS1_21rocsparse_index_base_S8_S8_S8_bb.uses_vcc, 1
	.set _ZN9rocsparseL32csrgemm_symbolic_fill_wf_per_rowILj256ELj8ELj16ELj137EllEEvT4_S1_PKS1_S3_PKT3_S3_S6_S3_S6_S3_S6_PS1_21rocsparse_index_base_S8_S8_S8_bb.uses_flat_scratch, 0
	.set _ZN9rocsparseL32csrgemm_symbolic_fill_wf_per_rowILj256ELj8ELj16ELj137EllEEvT4_S1_PKS1_S3_PKT3_S3_S6_S3_S6_S3_S6_PS1_21rocsparse_index_base_S8_S8_S8_bb.has_dyn_sized_stack, 0
	.set _ZN9rocsparseL32csrgemm_symbolic_fill_wf_per_rowILj256ELj8ELj16ELj137EllEEvT4_S1_PKS1_S3_PKT3_S3_S6_S3_S6_S3_S6_PS1_21rocsparse_index_base_S8_S8_S8_bb.has_recursion, 0
	.set _ZN9rocsparseL32csrgemm_symbolic_fill_wf_per_rowILj256ELj8ELj16ELj137EllEEvT4_S1_PKS1_S3_PKT3_S3_S6_S3_S6_S3_S6_PS1_21rocsparse_index_base_S8_S8_S8_bb.has_indirect_call, 0
	.section	.AMDGPU.csdata,"",@progbits
; Kernel info:
; codeLenInByte = 2076
; TotalNumSgprs: 34
; NumVgprs: 41
; ScratchSize: 0
; MemoryBound: 0
; FloatMode: 240
; IeeeMode: 1
; LDSByteSize: 4096 bytes/workgroup (compile time only)
; SGPRBlocks: 0
; VGPRBlocks: 5
; NumSGPRsForWavesPerEU: 34
; NumVGPRsForWavesPerEU: 41
; Occupancy: 16
; WaveLimiterHint : 1
; COMPUTE_PGM_RSRC2:SCRATCH_EN: 0
; COMPUTE_PGM_RSRC2:USER_SGPR: 6
; COMPUTE_PGM_RSRC2:TRAP_HANDLER: 0
; COMPUTE_PGM_RSRC2:TGID_X_EN: 1
; COMPUTE_PGM_RSRC2:TGID_Y_EN: 0
; COMPUTE_PGM_RSRC2:TGID_Z_EN: 0
; COMPUTE_PGM_RSRC2:TIDIG_COMP_CNT: 0
	.section	.text._ZN9rocsparseL32csrgemm_symbolic_fill_wf_per_rowILj256ELj16ELj32ELj137EllEEvT4_S1_PKS1_S3_PKT3_S3_S6_S3_S6_S3_S6_PS1_21rocsparse_index_base_S8_S8_S8_bb,"axG",@progbits,_ZN9rocsparseL32csrgemm_symbolic_fill_wf_per_rowILj256ELj16ELj32ELj137EllEEvT4_S1_PKS1_S3_PKT3_S3_S6_S3_S6_S3_S6_PS1_21rocsparse_index_base_S8_S8_S8_bb,comdat
	.globl	_ZN9rocsparseL32csrgemm_symbolic_fill_wf_per_rowILj256ELj16ELj32ELj137EllEEvT4_S1_PKS1_S3_PKT3_S3_S6_S3_S6_S3_S6_PS1_21rocsparse_index_base_S8_S8_S8_bb ; -- Begin function _ZN9rocsparseL32csrgemm_symbolic_fill_wf_per_rowILj256ELj16ELj32ELj137EllEEvT4_S1_PKS1_S3_PKT3_S3_S6_S3_S6_S3_S6_PS1_21rocsparse_index_base_S8_S8_S8_bb
	.p2align	8
	.type	_ZN9rocsparseL32csrgemm_symbolic_fill_wf_per_rowILj256ELj16ELj32ELj137EllEEvT4_S1_PKS1_S3_PKT3_S3_S6_S3_S6_S3_S6_PS1_21rocsparse_index_base_S8_S8_S8_bb,@function
_ZN9rocsparseL32csrgemm_symbolic_fill_wf_per_rowILj256ELj16ELj32ELj137EllEEvT4_S1_PKS1_S3_PKT3_S3_S6_S3_S6_S3_S6_PS1_21rocsparse_index_base_S8_S8_S8_bb: ; @_ZN9rocsparseL32csrgemm_symbolic_fill_wf_per_rowILj256ELj16ELj32ELj137EllEEvT4_S1_PKS1_S3_PKT3_S3_S6_S3_S6_S3_S6_PS1_21rocsparse_index_base_S8_S8_S8_bb
; %bb.0:
	s_load_dwordx8 s[8:15], s[4:5], 0x0
	v_lshrrev_b32_e32 v2, 4, v0
	s_clause 0x1
	s_load_dwordx8 s[16:23], s[4:5], 0x40
	s_load_dwordx8 s[24:31], s[4:5], 0x20
	v_and_b32_e32 v17, 15, v0
	s_mov_b32 s0, 0
	v_lshlrev_b32_e32 v14, 8, v2
	v_or_b32_e32 v16, -16, v17
	v_lshl_or_b32 v15, v17, 3, v14
	v_mov_b32_e32 v4, v16
	v_mov_b32_e32 v3, v15
	s_waitcnt lgkmcnt(0)
	v_mov_b32_e32 v0, s10
	v_mov_b32_e32 v1, s11
.LBB51_1:                               ; =>This Inner Loop Header: Depth=1
	v_add_co_u32 v4, s1, v4, 16
	s_xor_b32 s1, s1, -1
	ds_write_b64 v3, v[0:1]
	v_add_nc_u32_e32 v3, 0x80, v3
	s_and_b32 s1, exec_lo, s1
	s_or_b32 s0, s1, s0
	s_andn2_b32 exec_lo, exec_lo, s0
	s_cbranch_execnz .LBB51_1
; %bb.2:
	s_or_b32 exec_lo, exec_lo, s0
	s_lshl_b32 s0, s6, 4
	v_mov_b32_e32 v1, 0
	v_and_or_b32 v0, 0xffffff0, s0, v2
	s_waitcnt lgkmcnt(0)
	buffer_gl0_inv
	s_mov_b32 s0, exec_lo
	v_cmpx_gt_i64_e64 s[8:9], v[0:1]
	s_cbranch_execz .LBB51_37
; %bb.3:
	s_cmp_eq_u64 s[14:15], 0
	s_cbranch_scc1 .LBB51_5
; %bb.4:
	s_load_dwordx2 s[0:1], s[12:13], 0x0
	v_lshlrev_b32_e32 v0, 3, v0
	s_waitcnt lgkmcnt(0)
	s_lshl_b64 s[0:1], s[0:1], 3
	s_add_u32 s0, s14, s0
	s_addc_u32 s1, s15, s1
	global_load_dwordx2 v[0:1], v0, s[0:1]
.LBB51_5:
	s_clause 0x1
	s_load_dword s6, s[4:5], 0x70
	s_load_dwordx4 s[0:3], s[4:5], 0x60
	s_waitcnt vmcnt(0)
	v_lshlrev_b64 v[4:5], 3, v[0:1]
	s_waitcnt lgkmcnt(0)
	s_bitcmp0_b32 s6, 0
	s_cbranch_scc1 .LBB51_21
; %bb.6:
	v_add_co_u32 v0, vcc_lo, s24, v4
	v_add_co_ci_u32_e64 v1, null, s25, v5, vcc_lo
	v_sub_co_u32 v8, s4, v17, s0
	v_sub_co_ci_u32_e64 v9, null, 0, 0, s4
	global_load_dwordx4 v[0:3], v[0:1], off
	s_mov_b32 s4, exec_lo
	s_waitcnt vmcnt(0)
	v_sub_co_u32 v6, vcc_lo, v2, s0
	v_subrev_co_ci_u32_e64 v7, null, 0, v3, vcc_lo
	v_add_co_u32 v8, vcc_lo, v0, v8
	v_add_co_ci_u32_e64 v9, null, v1, v9, vcc_lo
	v_cmpx_lt_i64_e64 v[8:9], v[6:7]
	s_cbranch_execz .LBB51_20
; %bb.7:
	s_mov_b32 s5, 0
	s_branch .LBB51_9
.LBB51_8:                               ;   in Loop: Header=BB51_9 Depth=1
	s_or_b32 exec_lo, exec_lo, s7
	v_add_co_u32 v8, vcc_lo, v8, 16
	v_add_co_ci_u32_e64 v9, null, 0, v9, vcc_lo
	v_cmp_ge_i64_e32 vcc_lo, v[8:9], v[6:7]
	s_or_b32 s5, vcc_lo, s5
	s_andn2_b32 exec_lo, exec_lo, s5
	s_cbranch_execz .LBB51_20
.LBB51_9:                               ; =>This Loop Header: Depth=1
                                        ;     Child Loop BB51_12 Depth 2
                                        ;       Child Loop BB51_15 Depth 3
	v_lshlrev_b64 v[0:1], 3, v[8:9]
	s_mov_b32 s7, exec_lo
	v_add_co_u32 v0, vcc_lo, s26, v0
	v_add_co_ci_u32_e64 v1, null, s27, v1, vcc_lo
	global_load_dwordx2 v[0:1], v[0:1], off
	s_waitcnt vmcnt(0)
	v_sub_co_u32 v0, vcc_lo, v0, s0
	v_subrev_co_ci_u32_e64 v1, null, 0, v1, vcc_lo
	v_lshlrev_b64 v[0:1], 3, v[0:1]
	v_add_co_u32 v0, vcc_lo, s28, v0
	v_add_co_ci_u32_e64 v1, null, s29, v1, vcc_lo
	global_load_dwordx4 v[0:3], v[0:1], off
	s_waitcnt vmcnt(0)
	v_cmpx_lt_i64_e64 v[0:1], v[2:3]
	s_cbranch_execz .LBB51_8
; %bb.10:                               ;   in Loop: Header=BB51_9 Depth=1
	v_sub_co_u32 v2, vcc_lo, v2, s1
	v_subrev_co_ci_u32_e64 v3, null, 0, v3, vcc_lo
	v_sub_co_u32 v0, vcc_lo, v0, s1
	v_subrev_co_ci_u32_e64 v1, null, 0, v1, vcc_lo
	s_mov_b32 s8, 0
	s_branch .LBB51_12
.LBB51_11:                              ;   in Loop: Header=BB51_12 Depth=2
	s_inst_prefetch 0x2
	s_or_b32 exec_lo, exec_lo, s9
	v_add_co_u32 v0, vcc_lo, v0, 1
	v_add_co_ci_u32_e64 v1, null, 0, v1, vcc_lo
	v_cmp_ge_i64_e32 vcc_lo, v[0:1], v[2:3]
	s_or_b32 s8, vcc_lo, s8
	s_andn2_b32 exec_lo, exec_lo, s8
	s_cbranch_execz .LBB51_8
.LBB51_12:                              ;   Parent Loop BB51_9 Depth=1
                                        ; =>  This Loop Header: Depth=2
                                        ;       Child Loop BB51_15 Depth 3
	v_lshlrev_b64 v[10:11], 3, v[0:1]
	s_mov_b32 s9, 0
                                        ; implicit-def: $sgpr12
	v_add_co_u32 v10, vcc_lo, s30, v10
	v_add_co_ci_u32_e64 v11, null, s31, v11, vcc_lo
	global_load_dwordx2 v[10:11], v[10:11], off
	s_waitcnt vmcnt(0)
	v_sub_co_u32 v10, vcc_lo, v10, s1
	v_subrev_co_ci_u32_e64 v11, null, 0, v11, vcc_lo
	v_lshl_add_u32 v12, v10, 3, v10
	v_and_b32_e32 v18, 31, v12
	s_inst_prefetch 0x1
	s_branch .LBB51_15
	.p2align	6
.LBB51_13:                              ;   in Loop: Header=BB51_15 Depth=3
	s_or_b32 exec_lo, exec_lo, s14
	s_andn2_b32 s12, s12, exec_lo
	s_and_b32 s14, s15, exec_lo
	s_or_b32 s12, s12, s14
.LBB51_14:                              ;   in Loop: Header=BB51_15 Depth=3
	s_or_b32 exec_lo, exec_lo, s13
	s_xor_b32 s13, s12, -1
	s_and_b32 s13, exec_lo, s13
	s_or_b32 s9, s13, s9
	s_andn2_b32 exec_lo, exec_lo, s9
	s_cbranch_execz .LBB51_11
.LBB51_15:                              ;   Parent Loop BB51_9 Depth=1
                                        ;     Parent Loop BB51_12 Depth=2
                                        ; =>    This Inner Loop Header: Depth=3
	v_lshl_add_u32 v19, v18, 3, v14
	s_andn2_b32 s12, s12, exec_lo
	s_mov_b32 s13, exec_lo
	ds_read_b64 v[12:13], v19
	s_waitcnt lgkmcnt(0)
	v_cmpx_ne_u64_e64 v[12:13], v[10:11]
	s_cbranch_execz .LBB51_14
; %bb.16:                               ;   in Loop: Header=BB51_15 Depth=3
	s_mov_b32 s14, exec_lo
	v_cmpx_ne_u64_e64 s[10:11], v[12:13]
	s_xor_b32 s14, exec_lo, s14
; %bb.17:                               ;   in Loop: Header=BB51_15 Depth=3
	v_add_nc_u32_e32 v12, 1, v18
                                        ; implicit-def: $vgpr19
	v_and_b32_e32 v18, 31, v12
; %bb.18:                               ;   in Loop: Header=BB51_15 Depth=3
	s_or_saveexec_b32 s14, s14
	s_mov_b32 s15, -1
	s_xor_b32 exec_lo, exec_lo, s14
	s_cbranch_execz .LBB51_13
; %bb.19:                               ;   in Loop: Header=BB51_15 Depth=3
	v_mov_b32_e32 v13, s11
	v_mov_b32_e32 v12, s10
	ds_cmpst_rtn_b64 v[12:13], v19, v[12:13], v[10:11]
	s_waitcnt lgkmcnt(0)
	v_cmp_ne_u64_e32 vcc_lo, s[10:11], v[12:13]
	s_orn2_b32 s15, vcc_lo, exec_lo
	s_branch .LBB51_13
.LBB51_20:
	s_or_b32 exec_lo, exec_lo, s4
.LBB51_21:
	s_bfe_u32 s0, s6, 0x10008
	s_cmp_eq_u32 s0, 0
	s_cbranch_scc1 .LBB51_24
; %bb.22:
	v_add_co_u32 v0, vcc_lo, s16, v4
	v_add_co_ci_u32_e64 v1, null, s17, v5, vcc_lo
	v_sub_co_u32 v2, s0, v17, s3
	v_sub_co_ci_u32_e64 v3, null, 0, 0, s0
	global_load_dwordx4 v[6:9], v[0:1], off
	s_mov_b32 s0, 0
	s_mov_b32 s1, exec_lo
	s_waitcnt vmcnt(0)
	v_sub_co_u32 v0, vcc_lo, v8, s3
	v_subrev_co_ci_u32_e64 v1, null, 0, v9, vcc_lo
	v_add_co_u32 v2, vcc_lo, v6, v2
	v_add_co_ci_u32_e64 v3, null, v7, v3, vcc_lo
	v_cmpx_lt_i64_e64 v[2:3], v[0:1]
	s_cbranch_execnz .LBB51_29
.LBB51_23:
	s_or_b32 exec_lo, exec_lo, s1
.LBB51_24:
	v_add_co_u32 v0, vcc_lo, s20, v4
	v_add_co_ci_u32_e64 v1, null, s21, v5, vcc_lo
	buffer_gl0_inv
	s_mov_b32 s1, 0
	global_load_dwordx2 v[0:1], v[0:1], off
	s_waitcnt vmcnt(0)
	v_sub_co_u32 v0, vcc_lo, v0, s2
	v_subrev_co_ci_u32_e64 v1, null, 0, v1, vcc_lo
	v_lshlrev_b64 v[0:1], 3, v[0:1]
	v_add_co_u32 v2, vcc_lo, s22, v0
	v_add_co_ci_u32_e64 v3, null, s23, v1, vcc_lo
	s_branch .LBB51_26
.LBB51_25:                              ;   in Loop: Header=BB51_26 Depth=1
	s_or_b32 exec_lo, exec_lo, s3
	v_add_co_u32 v16, s0, v16, 16
	s_xor_b32 s0, s0, -1
	v_add_nc_u32_e32 v15, 0x80, v15
	s_and_b32 s0, exec_lo, s0
	s_or_b32 s1, s0, s1
	s_andn2_b32 exec_lo, exec_lo, s1
	s_cbranch_execz .LBB51_37
.LBB51_26:                              ; =>This Inner Loop Header: Depth=1
	ds_read_b64 v[0:1], v15
	s_mov_b32 s3, exec_lo
	s_waitcnt lgkmcnt(0)
	v_cmpx_gt_i64_e64 s[10:11], v[0:1]
	s_cbranch_execz .LBB51_25
; %bb.27:                               ;   in Loop: Header=BB51_26 Depth=1
	ds_read_b128 v[4:7], v14
	ds_read_b128 v[8:11], v14 offset:16
	ds_read_b128 v[17:20], v14 offset:32
	;; [unrolled: 1-line block ×11, first 2 shown]
	s_waitcnt lgkmcnt(11)
	v_cmp_gt_i64_e32 vcc_lo, v[0:1], v[4:5]
	v_cmp_gt_i64_e64 s0, v[0:1], v[6:7]
	ds_read_b128 v[4:7], v14 offset:192
	ds_read_b128 v[57:60], v14 offset:208
	v_cndmask_b32_e64 v12, 0, 1, vcc_lo
	s_waitcnt lgkmcnt(12)
	v_cmp_gt_i64_e32 vcc_lo, v[0:1], v[8:9]
	v_cndmask_b32_e64 v13, 0, 1, s0
	s_waitcnt lgkmcnt(10)
	v_cmp_gt_i64_e64 s0, v[0:1], v[21:22]
	v_lshlrev_b32_e32 v13, 3, v13
	v_cndmask_b32_e64 v8, 0, 1, vcc_lo
	v_cmp_gt_i64_e32 vcc_lo, v[0:1], v[10:11]
	v_lshlrev_b32_e32 v11, 3, v12
	v_lshlrev_b32_e32 v8, 3, v8
	v_cndmask_b32_e64 v9, 0, 1, vcc_lo
	v_cmp_gt_i64_e32 vcc_lo, v[0:1], v[17:18]
	v_lshlrev_b32_e32 v9, 3, v9
	v_cndmask_b32_e64 v10, 0, 1, vcc_lo
	v_cmp_gt_i64_e32 vcc_lo, v[0:1], v[19:20]
	v_lshlrev_b32_e32 v10, 3, v10
	v_cndmask_b32_e64 v12, 0, 1, vcc_lo
	v_add_co_u32 v11, vcc_lo, v2, v11
	v_add_co_ci_u32_e64 v17, null, 0, v3, vcc_lo
	v_add_co_u32 v11, vcc_lo, v11, v13
	v_add_co_ci_u32_e64 v13, null, 0, v17, vcc_lo
	;; [unrolled: 2-line block ×4, first 2 shown]
	v_lshlrev_b32_e32 v9, 3, v12
	v_add_co_u32 v8, vcc_lo, v8, v10
	v_add_co_ci_u32_e64 v13, null, 0, v11, vcc_lo
	v_cndmask_b32_e64 v12, 0, 1, s0
	v_add_co_u32 v21, vcc_lo, v8, v9
	v_add_co_ci_u32_e64 v13, null, 0, v13, vcc_lo
	v_cmp_gt_i64_e32 vcc_lo, v[0:1], v[23:24]
	v_lshlrev_b32_e32 v12, 3, v12
	ds_read_b128 v[8:11], v14 offset:224
	ds_read_b128 v[17:20], v14 offset:240
	v_cndmask_b32_e64 v22, 0, 1, vcc_lo
	v_add_co_u32 v12, vcc_lo, v21, v12
	v_add_co_ci_u32_e64 v13, null, 0, v13, vcc_lo
	s_waitcnt lgkmcnt(11)
	v_cmp_gt_i64_e32 vcc_lo, v[0:1], v[25:26]
	v_lshlrev_b32_e32 v21, 3, v22
	v_cndmask_b32_e64 v22, 0, 1, vcc_lo
	v_cmp_gt_i64_e32 vcc_lo, v[0:1], v[27:28]
	v_cndmask_b32_e64 v23, 0, 1, vcc_lo
	v_add_co_u32 v12, vcc_lo, v12, v21
	v_add_co_ci_u32_e64 v13, null, 0, v13, vcc_lo
	s_waitcnt lgkmcnt(10)
	v_cmp_gt_i64_e32 vcc_lo, v[0:1], v[29:30]
	v_lshlrev_b32_e32 v21, 3, v22
	v_lshlrev_b32_e32 v22, 3, v23
	v_cndmask_b32_e64 v23, 0, 1, vcc_lo
	v_add_co_u32 v12, vcc_lo, v12, v21
	v_add_co_ci_u32_e64 v13, null, 0, v13, vcc_lo
	v_lshlrev_b32_e32 v21, 3, v23
	v_add_co_u32 v12, vcc_lo, v12, v22
	v_add_co_ci_u32_e64 v13, null, 0, v13, vcc_lo
	v_cmp_gt_i64_e32 vcc_lo, v[0:1], v[31:32]
	v_cndmask_b32_e64 v22, 0, 1, vcc_lo
	v_add_co_u32 v12, vcc_lo, v12, v21
	v_add_co_ci_u32_e64 v13, null, 0, v13, vcc_lo
	s_waitcnt lgkmcnt(9)
	v_cmp_gt_i64_e32 vcc_lo, v[0:1], v[33:34]
	v_lshlrev_b32_e32 v21, 3, v22
	v_cndmask_b32_e64 v22, 0, 1, vcc_lo
	v_cmp_gt_i64_e32 vcc_lo, v[0:1], v[35:36]
	v_cndmask_b32_e64 v23, 0, 1, vcc_lo
	v_add_co_u32 v12, vcc_lo, v12, v21
	v_add_co_ci_u32_e64 v13, null, 0, v13, vcc_lo
	s_waitcnt lgkmcnt(8)
	v_cmp_gt_i64_e32 vcc_lo, v[0:1], v[37:38]
	v_lshlrev_b32_e32 v21, 3, v22
	v_lshlrev_b32_e32 v22, 3, v23
	v_cndmask_b32_e64 v23, 0, 1, vcc_lo
	v_add_co_u32 v12, vcc_lo, v12, v21
	v_add_co_ci_u32_e64 v13, null, 0, v13, vcc_lo
	v_lshlrev_b32_e32 v21, 3, v23
	v_add_co_u32 v12, vcc_lo, v12, v22
	v_add_co_ci_u32_e64 v13, null, 0, v13, vcc_lo
	v_cmp_gt_i64_e32 vcc_lo, v[0:1], v[39:40]
	;; [unrolled: 22-line block ×4, first 2 shown]
	v_cndmask_b32_e64 v22, 0, 1, vcc_lo
	v_add_co_u32 v12, vcc_lo, v12, v21
	v_add_co_ci_u32_e64 v13, null, 0, v13, vcc_lo
	s_waitcnt lgkmcnt(3)
	v_cmp_gt_i64_e32 vcc_lo, v[0:1], v[4:5]
	v_lshlrev_b32_e32 v21, 3, v22
	v_cndmask_b32_e64 v4, 0, 1, vcc_lo
	v_cmp_gt_i64_e32 vcc_lo, v[0:1], v[6:7]
	v_lshlrev_b32_e32 v4, 3, v4
	v_cndmask_b32_e64 v5, 0, 1, vcc_lo
	v_add_co_u32 v6, vcc_lo, v12, v21
	v_add_co_ci_u32_e64 v7, null, 0, v13, vcc_lo
	s_waitcnt lgkmcnt(2)
	v_cmp_gt_i64_e32 vcc_lo, v[0:1], v[57:58]
	v_lshlrev_b32_e32 v5, 3, v5
	v_cndmask_b32_e64 v12, 0, 1, vcc_lo
	v_add_co_u32 v4, vcc_lo, v6, v4
	v_add_co_ci_u32_e64 v6, null, 0, v7, vcc_lo
	v_lshlrev_b32_e32 v7, 3, v12
	v_add_co_u32 v4, vcc_lo, v4, v5
	v_add_co_ci_u32_e64 v5, null, 0, v6, vcc_lo
	v_cmp_gt_i64_e32 vcc_lo, v[0:1], v[59:60]
	v_cndmask_b32_e64 v6, 0, 1, vcc_lo
	v_add_co_u32 v4, vcc_lo, v4, v7
	v_add_co_ci_u32_e64 v5, null, 0, v5, vcc_lo
	s_waitcnt lgkmcnt(1)
	v_cmp_gt_i64_e32 vcc_lo, v[0:1], v[8:9]
	v_lshlrev_b32_e32 v6, 3, v6
	v_cndmask_b32_e64 v7, 0, 1, vcc_lo
	v_cmp_gt_i64_e32 vcc_lo, v[0:1], v[10:11]
	v_cndmask_b32_e64 v8, 0, 1, vcc_lo
	v_add_co_u32 v4, vcc_lo, v4, v6
	v_add_co_ci_u32_e64 v5, null, 0, v5, vcc_lo
	s_waitcnt lgkmcnt(0)
	v_cmp_gt_i64_e32 vcc_lo, v[0:1], v[17:18]
	v_lshlrev_b32_e32 v6, 3, v7
	v_lshlrev_b32_e32 v7, 3, v8
	v_cndmask_b32_e64 v8, 0, 1, vcc_lo
	v_add_co_u32 v4, vcc_lo, v4, v6
	v_add_co_ci_u32_e64 v5, null, 0, v5, vcc_lo
	v_lshlrev_b32_e32 v6, 3, v8
	v_add_co_u32 v4, vcc_lo, v4, v7
	v_add_co_ci_u32_e64 v5, null, 0, v5, vcc_lo
	v_cmp_gt_i64_e32 vcc_lo, v[0:1], v[19:20]
	v_cndmask_b32_e64 v7, 0, 1, vcc_lo
	v_add_co_u32 v4, vcc_lo, v4, v6
	v_add_co_ci_u32_e64 v5, null, 0, v5, vcc_lo
	v_lshlrev_b32_e32 v6, 3, v7
	v_add_co_u32 v0, vcc_lo, v0, s2
	v_add_co_ci_u32_e64 v1, null, 0, v1, vcc_lo
	v_add_co_u32 v4, vcc_lo, v4, v6
	v_add_co_ci_u32_e64 v5, null, 0, v5, vcc_lo
	global_store_dwordx2 v[4:5], v[0:1], off
	s_branch .LBB51_25
.LBB51_28:                              ;   in Loop: Header=BB51_29 Depth=1
	s_inst_prefetch 0x2
	s_or_b32 exec_lo, exec_lo, s4
	v_add_co_u32 v2, vcc_lo, v2, 16
	v_add_co_ci_u32_e64 v3, null, 0, v3, vcc_lo
	v_cmp_ge_i64_e32 vcc_lo, v[2:3], v[0:1]
	s_or_b32 s0, vcc_lo, s0
	s_andn2_b32 exec_lo, exec_lo, s0
	s_cbranch_execz .LBB51_23
.LBB51_29:                              ; =>This Loop Header: Depth=1
                                        ;     Child Loop BB51_32 Depth 2
	v_lshlrev_b64 v[6:7], 3, v[2:3]
	s_mov_b32 s4, 0
                                        ; implicit-def: $sgpr5
	v_add_co_u32 v6, vcc_lo, s18, v6
	v_add_co_ci_u32_e64 v7, null, s19, v7, vcc_lo
	global_load_dwordx2 v[6:7], v[6:7], off
	s_waitcnt vmcnt(0)
	v_sub_co_u32 v6, vcc_lo, v6, s3
	v_subrev_co_ci_u32_e64 v7, null, 0, v7, vcc_lo
	v_lshl_add_u32 v8, v6, 3, v6
	v_and_b32_e32 v10, 31, v8
	s_inst_prefetch 0x1
	s_branch .LBB51_32
	.p2align	6
.LBB51_30:                              ;   in Loop: Header=BB51_32 Depth=2
	s_or_b32 exec_lo, exec_lo, s7
	s_andn2_b32 s5, s5, exec_lo
	s_and_b32 s7, s8, exec_lo
	s_or_b32 s5, s5, s7
.LBB51_31:                              ;   in Loop: Header=BB51_32 Depth=2
	s_or_b32 exec_lo, exec_lo, s6
	s_xor_b32 s6, s5, -1
	s_and_b32 s6, exec_lo, s6
	s_or_b32 s4, s6, s4
	s_andn2_b32 exec_lo, exec_lo, s4
	s_cbranch_execz .LBB51_28
.LBB51_32:                              ;   Parent Loop BB51_29 Depth=1
                                        ; =>  This Inner Loop Header: Depth=2
	v_lshl_add_u32 v11, v10, 3, v14
	s_andn2_b32 s5, s5, exec_lo
	s_mov_b32 s6, exec_lo
	ds_read_b64 v[8:9], v11
	s_waitcnt lgkmcnt(0)
	v_cmpx_ne_u64_e64 v[8:9], v[6:7]
	s_cbranch_execz .LBB51_31
; %bb.33:                               ;   in Loop: Header=BB51_32 Depth=2
	s_mov_b32 s7, exec_lo
	v_cmpx_ne_u64_e64 s[10:11], v[8:9]
	s_xor_b32 s7, exec_lo, s7
; %bb.34:                               ;   in Loop: Header=BB51_32 Depth=2
	v_add_nc_u32_e32 v8, 1, v10
                                        ; implicit-def: $vgpr11
	v_and_b32_e32 v10, 31, v8
; %bb.35:                               ;   in Loop: Header=BB51_32 Depth=2
	s_or_saveexec_b32 s7, s7
	s_mov_b32 s8, -1
	s_xor_b32 exec_lo, exec_lo, s7
	s_cbranch_execz .LBB51_30
; %bb.36:                               ;   in Loop: Header=BB51_32 Depth=2
	v_mov_b32_e32 v8, s10
	v_mov_b32_e32 v9, s11
	ds_cmpst_rtn_b64 v[8:9], v11, v[8:9], v[6:7]
	s_waitcnt lgkmcnt(0)
	v_cmp_ne_u64_e32 vcc_lo, s[10:11], v[8:9]
	s_orn2_b32 s8, vcc_lo, exec_lo
	s_branch .LBB51_30
.LBB51_37:
	s_endpgm
	.section	.rodata,"a",@progbits
	.p2align	6, 0x0
	.amdhsa_kernel _ZN9rocsparseL32csrgemm_symbolic_fill_wf_per_rowILj256ELj16ELj32ELj137EllEEvT4_S1_PKS1_S3_PKT3_S3_S6_S3_S6_S3_S6_PS1_21rocsparse_index_base_S8_S8_S8_bb
		.amdhsa_group_segment_fixed_size 4096
		.amdhsa_private_segment_fixed_size 0
		.amdhsa_kernarg_size 116
		.amdhsa_user_sgpr_count 6
		.amdhsa_user_sgpr_private_segment_buffer 1
		.amdhsa_user_sgpr_dispatch_ptr 0
		.amdhsa_user_sgpr_queue_ptr 0
		.amdhsa_user_sgpr_kernarg_segment_ptr 1
		.amdhsa_user_sgpr_dispatch_id 0
		.amdhsa_user_sgpr_flat_scratch_init 0
		.amdhsa_user_sgpr_private_segment_size 0
		.amdhsa_wavefront_size32 1
		.amdhsa_uses_dynamic_stack 0
		.amdhsa_system_sgpr_private_segment_wavefront_offset 0
		.amdhsa_system_sgpr_workgroup_id_x 1
		.amdhsa_system_sgpr_workgroup_id_y 0
		.amdhsa_system_sgpr_workgroup_id_z 0
		.amdhsa_system_sgpr_workgroup_info 0
		.amdhsa_system_vgpr_workitem_id 0
		.amdhsa_next_free_vgpr 61
		.amdhsa_next_free_sgpr 32
		.amdhsa_reserve_vcc 1
		.amdhsa_reserve_flat_scratch 0
		.amdhsa_float_round_mode_32 0
		.amdhsa_float_round_mode_16_64 0
		.amdhsa_float_denorm_mode_32 3
		.amdhsa_float_denorm_mode_16_64 3
		.amdhsa_dx10_clamp 1
		.amdhsa_ieee_mode 1
		.amdhsa_fp16_overflow 0
		.amdhsa_workgroup_processor_mode 1
		.amdhsa_memory_ordered 1
		.amdhsa_forward_progress 1
		.amdhsa_shared_vgpr_count 0
		.amdhsa_exception_fp_ieee_invalid_op 0
		.amdhsa_exception_fp_denorm_src 0
		.amdhsa_exception_fp_ieee_div_zero 0
		.amdhsa_exception_fp_ieee_overflow 0
		.amdhsa_exception_fp_ieee_underflow 0
		.amdhsa_exception_fp_ieee_inexact 0
		.amdhsa_exception_int_div_zero 0
	.end_amdhsa_kernel
	.section	.text._ZN9rocsparseL32csrgemm_symbolic_fill_wf_per_rowILj256ELj16ELj32ELj137EllEEvT4_S1_PKS1_S3_PKT3_S3_S6_S3_S6_S3_S6_PS1_21rocsparse_index_base_S8_S8_S8_bb,"axG",@progbits,_ZN9rocsparseL32csrgemm_symbolic_fill_wf_per_rowILj256ELj16ELj32ELj137EllEEvT4_S1_PKS1_S3_PKT3_S3_S6_S3_S6_S3_S6_PS1_21rocsparse_index_base_S8_S8_S8_bb,comdat
.Lfunc_end51:
	.size	_ZN9rocsparseL32csrgemm_symbolic_fill_wf_per_rowILj256ELj16ELj32ELj137EllEEvT4_S1_PKS1_S3_PKT3_S3_S6_S3_S6_S3_S6_PS1_21rocsparse_index_base_S8_S8_S8_bb, .Lfunc_end51-_ZN9rocsparseL32csrgemm_symbolic_fill_wf_per_rowILj256ELj16ELj32ELj137EllEEvT4_S1_PKS1_S3_PKT3_S3_S6_S3_S6_S3_S6_PS1_21rocsparse_index_base_S8_S8_S8_bb
                                        ; -- End function
	.set _ZN9rocsparseL32csrgemm_symbolic_fill_wf_per_rowILj256ELj16ELj32ELj137EllEEvT4_S1_PKS1_S3_PKT3_S3_S6_S3_S6_S3_S6_PS1_21rocsparse_index_base_S8_S8_S8_bb.num_vgpr, 61
	.set _ZN9rocsparseL32csrgemm_symbolic_fill_wf_per_rowILj256ELj16ELj32ELj137EllEEvT4_S1_PKS1_S3_PKT3_S3_S6_S3_S6_S3_S6_PS1_21rocsparse_index_base_S8_S8_S8_bb.num_agpr, 0
	.set _ZN9rocsparseL32csrgemm_symbolic_fill_wf_per_rowILj256ELj16ELj32ELj137EllEEvT4_S1_PKS1_S3_PKT3_S3_S6_S3_S6_S3_S6_PS1_21rocsparse_index_base_S8_S8_S8_bb.numbered_sgpr, 32
	.set _ZN9rocsparseL32csrgemm_symbolic_fill_wf_per_rowILj256ELj16ELj32ELj137EllEEvT4_S1_PKS1_S3_PKT3_S3_S6_S3_S6_S3_S6_PS1_21rocsparse_index_base_S8_S8_S8_bb.num_named_barrier, 0
	.set _ZN9rocsparseL32csrgemm_symbolic_fill_wf_per_rowILj256ELj16ELj32ELj137EllEEvT4_S1_PKS1_S3_PKT3_S3_S6_S3_S6_S3_S6_PS1_21rocsparse_index_base_S8_S8_S8_bb.private_seg_size, 0
	.set _ZN9rocsparseL32csrgemm_symbolic_fill_wf_per_rowILj256ELj16ELj32ELj137EllEEvT4_S1_PKS1_S3_PKT3_S3_S6_S3_S6_S3_S6_PS1_21rocsparse_index_base_S8_S8_S8_bb.uses_vcc, 1
	.set _ZN9rocsparseL32csrgemm_symbolic_fill_wf_per_rowILj256ELj16ELj32ELj137EllEEvT4_S1_PKS1_S3_PKT3_S3_S6_S3_S6_S3_S6_PS1_21rocsparse_index_base_S8_S8_S8_bb.uses_flat_scratch, 0
	.set _ZN9rocsparseL32csrgemm_symbolic_fill_wf_per_rowILj256ELj16ELj32ELj137EllEEvT4_S1_PKS1_S3_PKT3_S3_S6_S3_S6_S3_S6_PS1_21rocsparse_index_base_S8_S8_S8_bb.has_dyn_sized_stack, 0
	.set _ZN9rocsparseL32csrgemm_symbolic_fill_wf_per_rowILj256ELj16ELj32ELj137EllEEvT4_S1_PKS1_S3_PKT3_S3_S6_S3_S6_S3_S6_PS1_21rocsparse_index_base_S8_S8_S8_bb.has_recursion, 0
	.set _ZN9rocsparseL32csrgemm_symbolic_fill_wf_per_rowILj256ELj16ELj32ELj137EllEEvT4_S1_PKS1_S3_PKT3_S3_S6_S3_S6_S3_S6_PS1_21rocsparse_index_base_S8_S8_S8_bb.has_indirect_call, 0
	.section	.AMDGPU.csdata,"",@progbits
; Kernel info:
; codeLenInByte = 2652
; TotalNumSgprs: 34
; NumVgprs: 61
; ScratchSize: 0
; MemoryBound: 0
; FloatMode: 240
; IeeeMode: 1
; LDSByteSize: 4096 bytes/workgroup (compile time only)
; SGPRBlocks: 0
; VGPRBlocks: 7
; NumSGPRsForWavesPerEU: 34
; NumVGPRsForWavesPerEU: 61
; Occupancy: 16
; WaveLimiterHint : 1
; COMPUTE_PGM_RSRC2:SCRATCH_EN: 0
; COMPUTE_PGM_RSRC2:USER_SGPR: 6
; COMPUTE_PGM_RSRC2:TRAP_HANDLER: 0
; COMPUTE_PGM_RSRC2:TGID_X_EN: 1
; COMPUTE_PGM_RSRC2:TGID_Y_EN: 0
; COMPUTE_PGM_RSRC2:TGID_Z_EN: 0
; COMPUTE_PGM_RSRC2:TIDIG_COMP_CNT: 0
	.section	.text._ZN9rocsparseL35csrgemm_symbolic_fill_block_per_rowILj128ELj16ELj256ELj137ELj32EllEEvT5_PKS1_S3_PKT4_S3_S6_S3_S6_S3_S6_PS1_21rocsparse_index_base_S8_S8_S8_bb,"axG",@progbits,_ZN9rocsparseL35csrgemm_symbolic_fill_block_per_rowILj128ELj16ELj256ELj137ELj32EllEEvT5_PKS1_S3_PKT4_S3_S6_S3_S6_S3_S6_PS1_21rocsparse_index_base_S8_S8_S8_bb,comdat
	.globl	_ZN9rocsparseL35csrgemm_symbolic_fill_block_per_rowILj128ELj16ELj256ELj137ELj32EllEEvT5_PKS1_S3_PKT4_S3_S6_S3_S6_S3_S6_PS1_21rocsparse_index_base_S8_S8_S8_bb ; -- Begin function _ZN9rocsparseL35csrgemm_symbolic_fill_block_per_rowILj128ELj16ELj256ELj137ELj32EllEEvT5_PKS1_S3_PKT4_S3_S6_S3_S6_S3_S6_PS1_21rocsparse_index_base_S8_S8_S8_bb
	.p2align	8
	.type	_ZN9rocsparseL35csrgemm_symbolic_fill_block_per_rowILj128ELj16ELj256ELj137ELj32EllEEvT5_PKS1_S3_PKT4_S3_S6_S3_S6_S3_S6_PS1_21rocsparse_index_base_S8_S8_S8_bb,@function
_ZN9rocsparseL35csrgemm_symbolic_fill_block_per_rowILj128ELj16ELj256ELj137ELj32EllEEvT5_PKS1_S3_PKT4_S3_S6_S3_S6_S3_S6_PS1_21rocsparse_index_base_S8_S8_S8_bb: ; @_ZN9rocsparseL35csrgemm_symbolic_fill_block_per_rowILj128ELj16ELj256ELj137ELj32EllEEvT5_PKS1_S3_PKT4_S3_S6_S3_S6_S3_S6_PS1_21rocsparse_index_base_S8_S8_S8_bb
; %bb.0:
	s_clause 0x3
	s_load_dwordx2 s[28:29], s[4:5], 0x50
	s_load_dwordx4 s[24:27], s[4:5], 0x40
	s_load_dwordx8 s[8:15], s[4:5], 0x0
	s_load_dwordx8 s[16:23], s[4:5], 0x20
	v_cmp_gt_u32_e64 s0, 0x100, v0
	v_or_b32_e32 v11, 0xffffff80, v0
	v_lshl_add_u32 v12, v0, 3, 0
	s_and_saveexec_b32 s1, s0
	s_cbranch_execz .LBB52_3
; %bb.1:
	s_waitcnt lgkmcnt(0)
	v_mov_b32_e32 v1, s8
	v_or_b32_e32 v3, 0xffffff80, v0
	v_lshl_add_u32 v4, v0, 3, 0
	v_mov_b32_e32 v2, s9
	s_mov_b32 s2, 0
.LBB52_2:                               ; =>This Inner Loop Header: Depth=1
	v_add_co_u32 v3, s3, 0x80, v3
	s_xor_b32 s3, s3, -1
	ds_write_b64 v4, v[1:2]
	v_add_nc_u32_e32 v4, 0x400, v4
	s_and_b32 s3, exec_lo, s3
	s_or_b32 s2, s3, s2
	s_andn2_b32 exec_lo, exec_lo, s2
	s_cbranch_execnz .LBB52_2
.LBB52_3:
	s_or_b32 exec_lo, exec_lo, s1
	s_load_dword s1, s[4:5], 0x68
	s_waitcnt lgkmcnt(0)
	s_barrier
	buffer_gl0_inv
	s_load_dwordx2 s[2:3], s[10:11], 0x0
	s_mov_b32 s7, 0
	s_bitcmp1_b32 s1, 0
	s_cselect_b32 s30, -1, 0
	s_waitcnt lgkmcnt(0)
	s_lshl_b64 s[2:3], s[2:3], 3
	s_add_u32 s10, s12, s2
	s_addc_u32 s11, s13, s3
	s_lshl_b64 s[2:3], s[6:7], 3
	s_add_u32 s2, s10, s2
	s_addc_u32 s3, s11, s3
	s_load_dwordx4 s[4:7], s[4:5], 0x58
	s_load_dwordx2 s[10:11], s[2:3], 0x0
	s_and_b32 vcc_lo, exec_lo, s30
	s_cbranch_vccz .LBB52_19
; %bb.4:
	s_waitcnt lgkmcnt(0)
	s_lshl_b64 s[2:3], s[10:11], 3
	v_lshrrev_b32_e32 v1, 4, v0
	s_add_u32 s2, s14, s2
	s_addc_u32 s3, s15, s3
	s_load_dwordx4 s[12:15], s[2:3], 0x0
	v_sub_co_u32 v1, s2, v1, s4
	v_sub_co_ci_u32_e64 v2, null, 0, 0, s2
	s_waitcnt lgkmcnt(0)
	v_add_co_u32 v1, vcc_lo, s12, v1
	v_add_co_ci_u32_e64 v2, null, s13, v2, vcc_lo
	s_sub_u32 s2, s14, s4
	s_subb_u32 s3, s15, 0
	s_mov_b32 s12, exec_lo
	v_cmpx_gt_i64_e64 s[2:3], v[1:2]
	s_cbranch_execz .LBB52_18
; %bb.5:
	v_and_b32_e32 v3, 15, v0
	v_sub_co_u32 v13, s13, v3, s5
	v_sub_co_ci_u32_e64 v14, null, 0, 0, s13
	s_mov_b32 s13, 0
	s_branch .LBB52_7
.LBB52_6:                               ;   in Loop: Header=BB52_7 Depth=1
	s_or_b32 exec_lo, exec_lo, s14
	v_add_co_u32 v1, vcc_lo, v1, 8
	v_add_co_ci_u32_e64 v2, null, 0, v2, vcc_lo
	v_cmp_le_i64_e32 vcc_lo, s[2:3], v[1:2]
	s_or_b32 s13, vcc_lo, s13
	s_andn2_b32 exec_lo, exec_lo, s13
	s_cbranch_execz .LBB52_18
.LBB52_7:                               ; =>This Loop Header: Depth=1
                                        ;     Child Loop BB52_10 Depth 2
                                        ;       Child Loop BB52_13 Depth 3
	v_lshlrev_b64 v[3:4], 3, v[1:2]
	s_mov_b32 s14, exec_lo
	v_add_co_u32 v3, vcc_lo, s16, v3
	v_add_co_ci_u32_e64 v4, null, s17, v4, vcc_lo
	global_load_dwordx2 v[3:4], v[3:4], off
	s_waitcnt vmcnt(0)
	v_sub_co_u32 v3, vcc_lo, v3, s4
	v_subrev_co_ci_u32_e64 v4, null, 0, v4, vcc_lo
	v_lshlrev_b64 v[3:4], 3, v[3:4]
	v_add_co_u32 v3, vcc_lo, s18, v3
	v_add_co_ci_u32_e64 v4, null, s19, v4, vcc_lo
	global_load_dwordx4 v[5:8], v[3:4], off
	s_waitcnt vmcnt(0)
	v_sub_co_u32 v3, vcc_lo, v7, s5
	v_subrev_co_ci_u32_e64 v4, null, 0, v8, vcc_lo
	v_add_co_u32 v5, vcc_lo, v5, v13
	v_add_co_ci_u32_e64 v6, null, v6, v14, vcc_lo
	v_cmpx_lt_i64_e64 v[5:6], v[3:4]
	s_cbranch_execz .LBB52_6
; %bb.8:                                ;   in Loop: Header=BB52_7 Depth=1
	s_mov_b32 s15, 0
	s_branch .LBB52_10
.LBB52_9:                               ;   in Loop: Header=BB52_10 Depth=2
	s_inst_prefetch 0x2
	s_or_b32 exec_lo, exec_lo, s30
	v_add_co_u32 v5, vcc_lo, v5, 16
	v_add_co_ci_u32_e64 v6, null, 0, v6, vcc_lo
	v_cmp_ge_i64_e32 vcc_lo, v[5:6], v[3:4]
	s_or_b32 s15, vcc_lo, s15
	s_andn2_b32 exec_lo, exec_lo, s15
	s_cbranch_execz .LBB52_6
.LBB52_10:                              ;   Parent Loop BB52_7 Depth=1
                                        ; =>  This Loop Header: Depth=2
                                        ;       Child Loop BB52_13 Depth 3
	v_lshlrev_b64 v[7:8], 3, v[5:6]
	s_mov_b32 s30, 0
                                        ; implicit-def: $sgpr31
	v_add_co_u32 v7, vcc_lo, s20, v7
	v_add_co_ci_u32_e64 v8, null, s21, v8, vcc_lo
	global_load_dwordx2 v[7:8], v[7:8], off
	s_waitcnt vmcnt(0)
	v_sub_co_u32 v7, vcc_lo, v7, s5
	v_subrev_co_ci_u32_e64 v8, null, 0, v8, vcc_lo
	v_mul_lo_u32 v9, 0x89, v7
	v_and_b32_e32 v15, 0xff, v9
	s_inst_prefetch 0x1
	s_branch .LBB52_13
	.p2align	6
.LBB52_11:                              ;   in Loop: Header=BB52_13 Depth=3
	s_or_b32 exec_lo, exec_lo, s34
	s_andn2_b32 s31, s31, exec_lo
	s_and_b32 s34, s35, exec_lo
	s_or_b32 s31, s31, s34
.LBB52_12:                              ;   in Loop: Header=BB52_13 Depth=3
	s_or_b32 exec_lo, exec_lo, s33
	s_xor_b32 s33, s31, -1
	s_and_b32 s33, exec_lo, s33
	s_or_b32 s30, s33, s30
	s_andn2_b32 exec_lo, exec_lo, s30
	s_cbranch_execz .LBB52_9
.LBB52_13:                              ;   Parent Loop BB52_7 Depth=1
                                        ;     Parent Loop BB52_10 Depth=2
                                        ; =>    This Inner Loop Header: Depth=3
	v_lshl_add_u32 v16, v15, 3, 0
	s_andn2_b32 s31, s31, exec_lo
	s_mov_b32 s33, exec_lo
	ds_read_b64 v[9:10], v16
	s_waitcnt lgkmcnt(0)
	v_cmpx_ne_u64_e64 v[9:10], v[7:8]
	s_cbranch_execz .LBB52_12
; %bb.14:                               ;   in Loop: Header=BB52_13 Depth=3
	s_mov_b32 s34, exec_lo
	v_cmpx_ne_u64_e64 s[8:9], v[9:10]
	s_xor_b32 s34, exec_lo, s34
; %bb.15:                               ;   in Loop: Header=BB52_13 Depth=3
	v_add_nc_u32_e32 v9, 1, v15
                                        ; implicit-def: $vgpr16
	v_and_b32_e32 v15, 0xff, v9
; %bb.16:                               ;   in Loop: Header=BB52_13 Depth=3
	s_or_saveexec_b32 s34, s34
	s_mov_b32 s35, -1
	s_xor_b32 exec_lo, exec_lo, s34
	s_cbranch_execz .LBB52_11
; %bb.17:                               ;   in Loop: Header=BB52_13 Depth=3
	v_mov_b32_e32 v10, s9
	v_mov_b32_e32 v9, s8
	ds_cmpst_rtn_b64 v[9:10], v16, v[9:10], v[7:8]
	s_waitcnt lgkmcnt(0)
	v_cmp_ne_u64_e32 vcc_lo, s[8:9], v[9:10]
	s_orn2_b32 s35, vcc_lo, exec_lo
	s_branch .LBB52_11
.LBB52_18:
	s_or_b32 exec_lo, exec_lo, s12
.LBB52_19:
	s_bfe_u32 s1, s1, 0x10008
	s_cmp_eq_u32 s1, 0
	s_cbranch_scc1 .LBB52_32
; %bb.20:
	s_waitcnt lgkmcnt(0)
	s_lshl_b64 s[2:3], s[10:11], 3
	v_sub_co_u32 v1, s1, v0, s7
	s_add_u32 s2, s22, s2
	s_addc_u32 s3, s23, s3
	v_sub_co_ci_u32_e64 v2, null, 0, 0, s1
	s_load_dwordx4 s[12:15], s[2:3], 0x0
	s_mov_b32 s1, 0
	s_mov_b32 s4, exec_lo
	s_waitcnt lgkmcnt(0)
	v_add_co_u32 v1, vcc_lo, s12, v1
	v_add_co_ci_u32_e64 v2, null, s13, v2, vcc_lo
	s_sub_u32 s2, s14, s7
	s_subb_u32 s3, s15, 0
	v_cmpx_gt_i64_e64 s[2:3], v[1:2]
	s_cbranch_execz .LBB52_31
; %bb.21:
	s_mov_b32 s5, s7
	s_branch .LBB52_23
.LBB52_22:                              ;   in Loop: Header=BB52_23 Depth=1
	s_inst_prefetch 0x2
	s_or_b32 exec_lo, exec_lo, s7
	v_add_co_u32 v1, vcc_lo, 0x80, v1
	v_add_co_ci_u32_e64 v2, null, 0, v2, vcc_lo
	v_cmp_le_i64_e32 vcc_lo, s[2:3], v[1:2]
	s_or_b32 s1, vcc_lo, s1
	s_andn2_b32 exec_lo, exec_lo, s1
	s_cbranch_execz .LBB52_31
.LBB52_23:                              ; =>This Loop Header: Depth=1
                                        ;     Child Loop BB52_26 Depth 2
	v_lshlrev_b64 v[3:4], 3, v[1:2]
	s_mov_b32 s7, 0
                                        ; implicit-def: $sgpr12
	v_add_co_u32 v3, vcc_lo, s24, v3
	v_add_co_ci_u32_e64 v4, null, s25, v4, vcc_lo
	global_load_dwordx2 v[3:4], v[3:4], off
	s_waitcnt vmcnt(0)
	v_sub_co_u32 v3, vcc_lo, v3, s5
	v_subrev_co_ci_u32_e64 v4, null, 0, v4, vcc_lo
	v_mul_lo_u32 v5, 0x89, v3
	v_and_b32_e32 v7, 0xff, v5
	s_inst_prefetch 0x1
	s_branch .LBB52_26
	.p2align	6
.LBB52_24:                              ;   in Loop: Header=BB52_26 Depth=2
	s_or_b32 exec_lo, exec_lo, s14
	s_andn2_b32 s12, s12, exec_lo
	s_and_b32 s14, s15, exec_lo
	s_or_b32 s12, s12, s14
.LBB52_25:                              ;   in Loop: Header=BB52_26 Depth=2
	s_or_b32 exec_lo, exec_lo, s13
	s_xor_b32 s13, s12, -1
	s_and_b32 s13, exec_lo, s13
	s_or_b32 s7, s13, s7
	s_andn2_b32 exec_lo, exec_lo, s7
	s_cbranch_execz .LBB52_22
.LBB52_26:                              ;   Parent Loop BB52_23 Depth=1
                                        ; =>  This Inner Loop Header: Depth=2
	v_lshl_add_u32 v8, v7, 3, 0
	s_andn2_b32 s12, s12, exec_lo
	s_mov_b32 s13, exec_lo
	ds_read_b64 v[5:6], v8
	s_waitcnt lgkmcnt(0)
	v_cmpx_ne_u64_e64 v[5:6], v[3:4]
	s_cbranch_execz .LBB52_25
; %bb.27:                               ;   in Loop: Header=BB52_26 Depth=2
	s_mov_b32 s14, exec_lo
	v_cmpx_ne_u64_e64 s[8:9], v[5:6]
	s_xor_b32 s14, exec_lo, s14
; %bb.28:                               ;   in Loop: Header=BB52_26 Depth=2
	v_add_nc_u32_e32 v5, 1, v7
                                        ; implicit-def: $vgpr8
	v_and_b32_e32 v7, 0xff, v5
; %bb.29:                               ;   in Loop: Header=BB52_26 Depth=2
	s_or_saveexec_b32 s14, s14
	s_mov_b32 s15, -1
	s_xor_b32 exec_lo, exec_lo, s14
	s_cbranch_execz .LBB52_24
; %bb.30:                               ;   in Loop: Header=BB52_26 Depth=2
	v_mov_b32_e32 v5, s8
	v_mov_b32_e32 v6, s9
	ds_cmpst_rtn_b64 v[5:6], v8, v[5:6], v[3:4]
	s_waitcnt lgkmcnt(0)
	v_cmp_ne_u64_e32 vcc_lo, s[8:9], v[5:6]
	s_orn2_b32 s15, vcc_lo, exec_lo
	s_branch .LBB52_24
.LBB52_31:
	s_or_b32 exec_lo, exec_lo, s4
.LBB52_32:
	s_waitcnt lgkmcnt(0)
	s_barrier
	buffer_gl0_inv
	s_and_saveexec_b32 s4, s0
	s_cbranch_execz .LBB52_45
; %bb.33:
	v_mbcnt_lo_u32_b32 v1, -1, 0
	v_lshrrev_b32_e32 v3, 2, v0
	v_mov_b32_e32 v2, 0
	v_cmp_lt_u32_e64 s0, 31, v0
	v_cmp_lt_u32_e64 s1, 63, v0
	v_xor_b32_e32 v1, 31, v1
	v_and_b32_e32 v5, 24, v3
	v_mov_b32_e32 v3, 0
	v_mov_b32_e32 v4, 0
	v_cmp_lt_u32_e64 s2, 0x5f, v0
	v_lshrrev_b32_e64 v9, v1, -1
	v_add_nc_u32_e32 v10, 0, v5
	s_mov_b32 s5, 0
	v_cmp_eq_u32_e32 vcc_lo, 0x7f, v0
	s_branch .LBB52_35
.LBB52_34:                              ;   in Loop: Header=BB52_35 Depth=1
	s_or_b32 exec_lo, exec_lo, s3
	s_waitcnt lgkmcnt(0)
	s_barrier
	buffer_gl0_inv
	ds_read_b64 v[5:6], v2 offset:2072
	v_add_co_u32 v11, s3, 0x80, v11
	s_xor_b32 s7, s3, -1
	v_add_nc_u32_e32 v12, 0x400, v12
	s_waitcnt lgkmcnt(0)
	v_add_co_u32 v3, s3, v5, v3
	v_add_co_ci_u32_e64 v4, null, v6, v4, s3
	s_and_b32 s3, exec_lo, s7
	s_or_b32 s5, s3, s5
	s_andn2_b32 exec_lo, exec_lo, s5
	s_cbranch_execz .LBB52_45
.LBB52_35:                              ; =>This Inner Loop Header: Depth=1
	ds_read_b64 v[5:6], v12
	s_waitcnt lgkmcnt(0)
	s_barrier
	buffer_gl0_inv
	v_cmp_gt_i64_e64 s3, s[8:9], v[5:6]
	v_and_b32_e32 v7, s3, v9
	s_bcnt1_i32_b32 s7, s3
	v_mov_b32_e32 v1, s7
	v_bcnt_u32_b32 v7, v7, 0
	ds_write_b64 v10, v[1:2] offset:2048
	s_waitcnt lgkmcnt(0)
	s_barrier
	buffer_gl0_inv
	s_and_saveexec_b32 s7, s0
	s_cbranch_execnz .LBB52_40
; %bb.36:                               ;   in Loop: Header=BB52_35 Depth=1
	s_or_b32 exec_lo, exec_lo, s7
	s_and_saveexec_b32 s7, s1
	s_cbranch_execnz .LBB52_41
.LBB52_37:                              ;   in Loop: Header=BB52_35 Depth=1
	s_or_b32 exec_lo, exec_lo, s7
	s_and_saveexec_b32 s7, s2
	s_cbranch_execnz .LBB52_42
.LBB52_38:                              ;   in Loop: Header=BB52_35 Depth=1
	s_or_b32 exec_lo, exec_lo, s7
	v_ashrrev_i32_e32 v8, 31, v7
	s_and_saveexec_b32 s7, s3
	s_cbranch_execnz .LBB52_43
.LBB52_39:                              ;   in Loop: Header=BB52_35 Depth=1
	s_or_b32 exec_lo, exec_lo, s7
	s_and_saveexec_b32 s3, vcc_lo
	s_cbranch_execz .LBB52_34
	s_branch .LBB52_44
.LBB52_40:                              ;   in Loop: Header=BB52_35 Depth=1
	ds_read_b32 v1, v2 offset:2048
	s_waitcnt lgkmcnt(0)
	v_add_nc_u32_e32 v7, v1, v7
	s_or_b32 exec_lo, exec_lo, s7
	s_and_saveexec_b32 s7, s1
	s_cbranch_execz .LBB52_37
.LBB52_41:                              ;   in Loop: Header=BB52_35 Depth=1
	ds_read_b32 v1, v2 offset:2056
	s_waitcnt lgkmcnt(0)
	v_add_nc_u32_e32 v7, v7, v1
	s_or_b32 exec_lo, exec_lo, s7
	s_and_saveexec_b32 s7, s2
	s_cbranch_execz .LBB52_38
.LBB52_42:                              ;   in Loop: Header=BB52_35 Depth=1
	ds_read_b32 v1, v2 offset:2064
	s_waitcnt lgkmcnt(0)
	v_add_nc_u32_e32 v7, v7, v1
	s_or_b32 exec_lo, exec_lo, s7
	v_ashrrev_i32_e32 v8, 31, v7
	s_and_saveexec_b32 s7, s3
	s_cbranch_execz .LBB52_39
.LBB52_43:                              ;   in Loop: Header=BB52_35 Depth=1
	v_lshlrev_b32_e32 v1, 3, v3
	v_lshlrev_b32_e32 v13, 3, v7
	v_add_nc_u32_e32 v1, 0, v1
	v_add3_u32 v1, v1, v13, -8
	ds_write_b64 v1, v[5:6]
	s_or_b32 exec_lo, exec_lo, s7
	s_and_saveexec_b32 s3, vcc_lo
	s_cbranch_execz .LBB52_34
.LBB52_44:                              ;   in Loop: Header=BB52_35 Depth=1
	ds_write_b64 v2, v[7:8] offset:2072
	s_branch .LBB52_34
.LBB52_45:
	s_or_b32 exec_lo, exec_lo, s4
	s_lshl_b64 s[0:1], s[10:11], 3
	v_mov_b32_e32 v1, 0
	s_add_u32 s0, s26, s0
	s_addc_u32 s1, s27, s1
	s_mov_b32 s7, exec_lo
	s_load_dwordx4 s[0:3], s[0:1], 0x0
	s_waitcnt lgkmcnt(0)
	s_sub_u32 s4, s2, s0
	s_subb_u32 s5, s3, s1
	v_cmpx_gt_i64_e64 s[4:5], v[0:1]
	s_cbranch_execz .LBB52_55
; %bb.46:
	s_sub_u32 s10, s0, s6
	s_subb_u32 s11, s1, 0
	s_and_b32 s8, s4, 7
	s_sub_u32 s0, s0, s2
	s_subb_u32 s1, s1, s3
	s_mov_b32 s9, 0
	v_cmp_lt_u64_e64 s7, s[0:1], -7
	s_and_b32 s2, s4, -8
	s_cmp_lg_u64 s[8:9], 0
	s_mov_b32 s3, s5
	s_cselect_b32 s14, -1, 0
	s_mov_b32 s15, s9
	s_branch .LBB52_48
.LBB52_47:                              ;   in Loop: Header=BB52_48 Depth=1
	v_add_co_u32 v0, vcc_lo, 0x80, v0
	v_lshlrev_b64 v[4:5], 3, v[4:5]
	v_add_co_ci_u32_e64 v1, null, 0, v1, vcc_lo
	s_waitcnt lgkmcnt(0)
	v_add_co_u32 v2, vcc_lo, v2, s6
	v_add_co_ci_u32_e64 v3, null, 0, v3, vcc_lo
	v_cmp_le_i64_e32 vcc_lo, s[4:5], v[0:1]
	v_add_co_u32 v4, s0, s28, v4
	v_add_co_ci_u32_e64 v5, null, s29, v5, s0
	s_or_b32 s15, vcc_lo, s15
	global_store_dwordx2 v[4:5], v[2:3], off
	s_andn2_b32 exec_lo, exec_lo, s15
	s_cbranch_execz .LBB52_55
.LBB52_48:                              ; =>This Loop Header: Depth=1
                                        ;     Child Loop BB52_50 Depth 2
                                        ;     Child Loop BB52_54 Depth 2
	v_lshl_add_u32 v2, v0, 3, 0
	v_mov_b32_e32 v4, s10
	v_mov_b32_e32 v5, s11
	s_andn2_b32 vcc_lo, exec_lo, s7
	s_mov_b64 s[0:1], 0
	ds_read_b64 v[2:3], v2
	s_cbranch_vccnz .LBB52_52
; %bb.49:                               ;   in Loop: Header=BB52_48 Depth=1
	v_mov_b32_e32 v4, s10
	v_mov_b32_e32 v5, s11
	s_mov_b64 s[12:13], 0
	s_mov_b32 s1, 0
.LBB52_50:                              ;   Parent Loop BB52_48 Depth=1
                                        ; =>  This Inner Loop Header: Depth=2
	v_mov_b32_e32 v18, s1
	s_add_u32 s12, s12, 8
	s_addc_u32 s13, s13, 0
	s_add_i32 s1, s1, 64
	s_cmp_eq_u64 s[2:3], s[12:13]
	ds_read2_b64 v[6:9], v18 offset1:1
	ds_read2_b64 v[10:13], v18 offset0:2 offset1:3
	ds_read2_b64 v[14:17], v18 offset0:4 offset1:5
	;; [unrolled: 1-line block ×3, first 2 shown]
	s_waitcnt lgkmcnt(3)
	v_cmp_gt_i64_e32 vcc_lo, v[2:3], v[6:7]
	v_cndmask_b32_e64 v6, 0, 1, vcc_lo
	v_cmp_gt_i64_e32 vcc_lo, v[2:3], v[8:9]
	v_cndmask_b32_e64 v7, 0, 1, vcc_lo
	s_waitcnt lgkmcnt(2)
	v_cmp_gt_i64_e32 vcc_lo, v[2:3], v[10:11]
	v_cndmask_b32_e64 v8, 0, 1, vcc_lo
	v_cmp_gt_i64_e32 vcc_lo, v[2:3], v[12:13]
	v_cndmask_b32_e64 v9, 0, 1, vcc_lo
	s_waitcnt lgkmcnt(1)
	v_cmp_gt_i64_e32 vcc_lo, v[2:3], v[14:15]
	v_cndmask_b32_e64 v10, 0, 1, vcc_lo
	v_add_co_u32 v4, vcc_lo, v4, v6
	v_add_co_ci_u32_e64 v5, null, 0, v5, vcc_lo
	v_cmp_gt_i64_e32 vcc_lo, v[2:3], v[16:17]
	v_add_co_u32 v4, s0, v4, v7
	v_add_co_ci_u32_e64 v5, null, 0, v5, s0
	v_cndmask_b32_e64 v6, 0, 1, vcc_lo
	v_add_co_u32 v4, vcc_lo, v4, v8
	v_add_co_ci_u32_e64 v5, null, 0, v5, vcc_lo
	s_waitcnt lgkmcnt(0)
	v_cmp_gt_i64_e32 vcc_lo, v[2:3], v[18:19]
	v_add_co_u32 v4, s0, v4, v9
	v_add_co_ci_u32_e64 v5, null, 0, v5, s0
	v_cndmask_b32_e64 v7, 0, 1, vcc_lo
	v_add_co_u32 v4, vcc_lo, v4, v10
	v_add_co_ci_u32_e64 v5, null, 0, v5, vcc_lo
	v_cmp_gt_i64_e32 vcc_lo, v[2:3], v[20:21]
	v_add_co_u32 v4, s0, v4, v6
	v_add_co_ci_u32_e64 v5, null, 0, v5, s0
	v_cndmask_b32_e64 v6, 0, 1, vcc_lo
	v_add_co_u32 v4, vcc_lo, v4, v7
	v_add_co_ci_u32_e64 v5, null, 0, v5, vcc_lo
	v_add_co_u32 v4, vcc_lo, v4, v6
	v_add_co_ci_u32_e64 v5, null, 0, v5, vcc_lo
	s_cbranch_scc0 .LBB52_50
; %bb.51:                               ;   in Loop: Header=BB52_48 Depth=1
	s_mov_b64 s[0:1], s[2:3]
.LBB52_52:                              ;   in Loop: Header=BB52_48 Depth=1
	s_andn2_b32 vcc_lo, exec_lo, s14
	s_cbranch_vccnz .LBB52_47
; %bb.53:                               ;   in Loop: Header=BB52_48 Depth=1
	s_lshl_b32 s0, s0, 3
	s_add_i32 s12, s0, 0
	s_mov_b64 s[0:1], s[8:9]
.LBB52_54:                              ;   Parent Loop BB52_48 Depth=1
                                        ; =>  This Inner Loop Header: Depth=2
	v_mov_b32_e32 v6, s12
	s_add_i32 s12, s12, 8
	s_add_u32 s0, s0, -1
	s_addc_u32 s1, s1, -1
	s_cmp_lg_u64 s[0:1], 0
	ds_read_b64 v[6:7], v6
	s_waitcnt lgkmcnt(0)
	v_cmp_gt_i64_e32 vcc_lo, v[2:3], v[6:7]
	v_cndmask_b32_e64 v6, 0, 1, vcc_lo
	v_add_co_u32 v4, vcc_lo, v4, v6
	v_add_co_ci_u32_e64 v5, null, 0, v5, vcc_lo
	s_cbranch_scc1 .LBB52_54
	s_branch .LBB52_47
.LBB52_55:
	s_endpgm
	.section	.rodata,"a",@progbits
	.p2align	6, 0x0
	.amdhsa_kernel _ZN9rocsparseL35csrgemm_symbolic_fill_block_per_rowILj128ELj16ELj256ELj137ELj32EllEEvT5_PKS1_S3_PKT4_S3_S6_S3_S6_S3_S6_PS1_21rocsparse_index_base_S8_S8_S8_bb
		.amdhsa_group_segment_fixed_size 0
		.amdhsa_private_segment_fixed_size 0
		.amdhsa_kernarg_size 108
		.amdhsa_user_sgpr_count 6
		.amdhsa_user_sgpr_private_segment_buffer 1
		.amdhsa_user_sgpr_dispatch_ptr 0
		.amdhsa_user_sgpr_queue_ptr 0
		.amdhsa_user_sgpr_kernarg_segment_ptr 1
		.amdhsa_user_sgpr_dispatch_id 0
		.amdhsa_user_sgpr_flat_scratch_init 0
		.amdhsa_user_sgpr_private_segment_size 0
		.amdhsa_wavefront_size32 1
		.amdhsa_uses_dynamic_stack 0
		.amdhsa_system_sgpr_private_segment_wavefront_offset 0
		.amdhsa_system_sgpr_workgroup_id_x 1
		.amdhsa_system_sgpr_workgroup_id_y 0
		.amdhsa_system_sgpr_workgroup_id_z 0
		.amdhsa_system_sgpr_workgroup_info 0
		.amdhsa_system_vgpr_workitem_id 0
		.amdhsa_next_free_vgpr 22
		.amdhsa_next_free_sgpr 36
		.amdhsa_reserve_vcc 1
		.amdhsa_reserve_flat_scratch 0
		.amdhsa_float_round_mode_32 0
		.amdhsa_float_round_mode_16_64 0
		.amdhsa_float_denorm_mode_32 3
		.amdhsa_float_denorm_mode_16_64 3
		.amdhsa_dx10_clamp 1
		.amdhsa_ieee_mode 1
		.amdhsa_fp16_overflow 0
		.amdhsa_workgroup_processor_mode 1
		.amdhsa_memory_ordered 1
		.amdhsa_forward_progress 1
		.amdhsa_shared_vgpr_count 0
		.amdhsa_exception_fp_ieee_invalid_op 0
		.amdhsa_exception_fp_denorm_src 0
		.amdhsa_exception_fp_ieee_div_zero 0
		.amdhsa_exception_fp_ieee_overflow 0
		.amdhsa_exception_fp_ieee_underflow 0
		.amdhsa_exception_fp_ieee_inexact 0
		.amdhsa_exception_int_div_zero 0
	.end_amdhsa_kernel
	.section	.text._ZN9rocsparseL35csrgemm_symbolic_fill_block_per_rowILj128ELj16ELj256ELj137ELj32EllEEvT5_PKS1_S3_PKT4_S3_S6_S3_S6_S3_S6_PS1_21rocsparse_index_base_S8_S8_S8_bb,"axG",@progbits,_ZN9rocsparseL35csrgemm_symbolic_fill_block_per_rowILj128ELj16ELj256ELj137ELj32EllEEvT5_PKS1_S3_PKT4_S3_S6_S3_S6_S3_S6_PS1_21rocsparse_index_base_S8_S8_S8_bb,comdat
.Lfunc_end52:
	.size	_ZN9rocsparseL35csrgemm_symbolic_fill_block_per_rowILj128ELj16ELj256ELj137ELj32EllEEvT5_PKS1_S3_PKT4_S3_S6_S3_S6_S3_S6_PS1_21rocsparse_index_base_S8_S8_S8_bb, .Lfunc_end52-_ZN9rocsparseL35csrgemm_symbolic_fill_block_per_rowILj128ELj16ELj256ELj137ELj32EllEEvT5_PKS1_S3_PKT4_S3_S6_S3_S6_S3_S6_PS1_21rocsparse_index_base_S8_S8_S8_bb
                                        ; -- End function
	.set _ZN9rocsparseL35csrgemm_symbolic_fill_block_per_rowILj128ELj16ELj256ELj137ELj32EllEEvT5_PKS1_S3_PKT4_S3_S6_S3_S6_S3_S6_PS1_21rocsparse_index_base_S8_S8_S8_bb.num_vgpr, 22
	.set _ZN9rocsparseL35csrgemm_symbolic_fill_block_per_rowILj128ELj16ELj256ELj137ELj32EllEEvT5_PKS1_S3_PKT4_S3_S6_S3_S6_S3_S6_PS1_21rocsparse_index_base_S8_S8_S8_bb.num_agpr, 0
	.set _ZN9rocsparseL35csrgemm_symbolic_fill_block_per_rowILj128ELj16ELj256ELj137ELj32EllEEvT5_PKS1_S3_PKT4_S3_S6_S3_S6_S3_S6_PS1_21rocsparse_index_base_S8_S8_S8_bb.numbered_sgpr, 36
	.set _ZN9rocsparseL35csrgemm_symbolic_fill_block_per_rowILj128ELj16ELj256ELj137ELj32EllEEvT5_PKS1_S3_PKT4_S3_S6_S3_S6_S3_S6_PS1_21rocsparse_index_base_S8_S8_S8_bb.num_named_barrier, 0
	.set _ZN9rocsparseL35csrgemm_symbolic_fill_block_per_rowILj128ELj16ELj256ELj137ELj32EllEEvT5_PKS1_S3_PKT4_S3_S6_S3_S6_S3_S6_PS1_21rocsparse_index_base_S8_S8_S8_bb.private_seg_size, 0
	.set _ZN9rocsparseL35csrgemm_symbolic_fill_block_per_rowILj128ELj16ELj256ELj137ELj32EllEEvT5_PKS1_S3_PKT4_S3_S6_S3_S6_S3_S6_PS1_21rocsparse_index_base_S8_S8_S8_bb.uses_vcc, 1
	.set _ZN9rocsparseL35csrgemm_symbolic_fill_block_per_rowILj128ELj16ELj256ELj137ELj32EllEEvT5_PKS1_S3_PKT4_S3_S6_S3_S6_S3_S6_PS1_21rocsparse_index_base_S8_S8_S8_bb.uses_flat_scratch, 0
	.set _ZN9rocsparseL35csrgemm_symbolic_fill_block_per_rowILj128ELj16ELj256ELj137ELj32EllEEvT5_PKS1_S3_PKT4_S3_S6_S3_S6_S3_S6_PS1_21rocsparse_index_base_S8_S8_S8_bb.has_dyn_sized_stack, 0
	.set _ZN9rocsparseL35csrgemm_symbolic_fill_block_per_rowILj128ELj16ELj256ELj137ELj32EllEEvT5_PKS1_S3_PKT4_S3_S6_S3_S6_S3_S6_PS1_21rocsparse_index_base_S8_S8_S8_bb.has_recursion, 0
	.set _ZN9rocsparseL35csrgemm_symbolic_fill_block_per_rowILj128ELj16ELj256ELj137ELj32EllEEvT5_PKS1_S3_PKT4_S3_S6_S3_S6_S3_S6_PS1_21rocsparse_index_base_S8_S8_S8_bb.has_indirect_call, 0
	.section	.AMDGPU.csdata,"",@progbits
; Kernel info:
; codeLenInByte = 2436
; TotalNumSgprs: 38
; NumVgprs: 22
; ScratchSize: 0
; MemoryBound: 0
; FloatMode: 240
; IeeeMode: 1
; LDSByteSize: 0 bytes/workgroup (compile time only)
; SGPRBlocks: 0
; VGPRBlocks: 2
; NumSGPRsForWavesPerEU: 38
; NumVGPRsForWavesPerEU: 22
; Occupancy: 16
; WaveLimiterHint : 1
; COMPUTE_PGM_RSRC2:SCRATCH_EN: 0
; COMPUTE_PGM_RSRC2:USER_SGPR: 6
; COMPUTE_PGM_RSRC2:TRAP_HANDLER: 0
; COMPUTE_PGM_RSRC2:TGID_X_EN: 1
; COMPUTE_PGM_RSRC2:TGID_Y_EN: 0
; COMPUTE_PGM_RSRC2:TGID_Z_EN: 0
; COMPUTE_PGM_RSRC2:TIDIG_COMP_CNT: 0
	.section	.text._ZN9rocsparseL35csrgemm_symbolic_fill_block_per_rowILj128ELj16ELj256ELj137ELj64EllEEvT5_PKS1_S3_PKT4_S3_S6_S3_S6_S3_S6_PS1_21rocsparse_index_base_S8_S8_S8_bb,"axG",@progbits,_ZN9rocsparseL35csrgemm_symbolic_fill_block_per_rowILj128ELj16ELj256ELj137ELj64EllEEvT5_PKS1_S3_PKT4_S3_S6_S3_S6_S3_S6_PS1_21rocsparse_index_base_S8_S8_S8_bb,comdat
	.globl	_ZN9rocsparseL35csrgemm_symbolic_fill_block_per_rowILj128ELj16ELj256ELj137ELj64EllEEvT5_PKS1_S3_PKT4_S3_S6_S3_S6_S3_S6_PS1_21rocsparse_index_base_S8_S8_S8_bb ; -- Begin function _ZN9rocsparseL35csrgemm_symbolic_fill_block_per_rowILj128ELj16ELj256ELj137ELj64EllEEvT5_PKS1_S3_PKT4_S3_S6_S3_S6_S3_S6_PS1_21rocsparse_index_base_S8_S8_S8_bb
	.p2align	8
	.type	_ZN9rocsparseL35csrgemm_symbolic_fill_block_per_rowILj128ELj16ELj256ELj137ELj64EllEEvT5_PKS1_S3_PKT4_S3_S6_S3_S6_S3_S6_PS1_21rocsparse_index_base_S8_S8_S8_bb,@function
_ZN9rocsparseL35csrgemm_symbolic_fill_block_per_rowILj128ELj16ELj256ELj137ELj64EllEEvT5_PKS1_S3_PKT4_S3_S6_S3_S6_S3_S6_PS1_21rocsparse_index_base_S8_S8_S8_bb: ; @_ZN9rocsparseL35csrgemm_symbolic_fill_block_per_rowILj128ELj16ELj256ELj137ELj64EllEEvT5_PKS1_S3_PKT4_S3_S6_S3_S6_S3_S6_PS1_21rocsparse_index_base_S8_S8_S8_bb
; %bb.0:
	s_clause 0x3
	s_load_dwordx2 s[28:29], s[4:5], 0x50
	s_load_dwordx4 s[24:27], s[4:5], 0x40
	s_load_dwordx8 s[8:15], s[4:5], 0x0
	s_load_dwordx8 s[16:23], s[4:5], 0x20
	v_cmp_gt_u32_e64 s0, 0x100, v0
	v_or_b32_e32 v11, 0xffffff80, v0
	v_lshl_add_u32 v12, v0, 3, 0
	s_and_saveexec_b32 s1, s0
	s_cbranch_execz .LBB53_3
; %bb.1:
	s_waitcnt lgkmcnt(0)
	v_mov_b32_e32 v1, s8
	v_or_b32_e32 v3, 0xffffff80, v0
	v_lshl_add_u32 v4, v0, 3, 0
	v_mov_b32_e32 v2, s9
	s_mov_b32 s2, 0
.LBB53_2:                               ; =>This Inner Loop Header: Depth=1
	v_add_co_u32 v3, s3, 0x80, v3
	s_xor_b32 s3, s3, -1
	ds_write_b64 v4, v[1:2]
	v_add_nc_u32_e32 v4, 0x400, v4
	s_and_b32 s3, exec_lo, s3
	s_or_b32 s2, s3, s2
	s_andn2_b32 exec_lo, exec_lo, s2
	s_cbranch_execnz .LBB53_2
.LBB53_3:
	s_or_b32 exec_lo, exec_lo, s1
	s_load_dword s1, s[4:5], 0x68
	s_waitcnt lgkmcnt(0)
	s_barrier
	buffer_gl0_inv
	s_load_dwordx2 s[2:3], s[10:11], 0x0
	s_mov_b32 s7, 0
	s_bitcmp1_b32 s1, 0
	s_cselect_b32 s10, -1, 0
	s_waitcnt lgkmcnt(0)
	s_lshl_b64 s[2:3], s[2:3], 3
	s_add_u32 s11, s12, s2
	s_addc_u32 s12, s13, s3
	s_lshl_b64 s[2:3], s[6:7], 3
	s_add_u32 s2, s11, s2
	s_addc_u32 s3, s12, s3
	s_load_dwordx4 s[4:7], s[4:5], 0x58
	s_load_dwordx2 s[2:3], s[2:3], 0x0
	s_and_b32 vcc_lo, exec_lo, s10
	s_cbranch_vccz .LBB53_19
; %bb.4:
	s_waitcnt lgkmcnt(0)
	s_lshl_b64 s[10:11], s[2:3], 3
	v_lshrrev_b32_e32 v1, 4, v0
	s_add_u32 s10, s14, s10
	s_addc_u32 s11, s15, s11
	s_load_dwordx4 s[12:15], s[10:11], 0x0
	v_sub_co_u32 v1, s10, v1, s4
	v_sub_co_ci_u32_e64 v2, null, 0, 0, s10
	s_waitcnt lgkmcnt(0)
	v_add_co_u32 v1, vcc_lo, s12, v1
	v_add_co_ci_u32_e64 v2, null, s13, v2, vcc_lo
	s_sub_u32 s10, s14, s4
	s_subb_u32 s11, s15, 0
	s_mov_b32 s12, exec_lo
	v_cmpx_gt_i64_e64 s[10:11], v[1:2]
	s_cbranch_execz .LBB53_18
; %bb.5:
	v_and_b32_e32 v3, 15, v0
	v_sub_co_u32 v13, s13, v3, s5
	v_sub_co_ci_u32_e64 v14, null, 0, 0, s13
	s_mov_b32 s13, 0
	s_branch .LBB53_7
.LBB53_6:                               ;   in Loop: Header=BB53_7 Depth=1
	s_or_b32 exec_lo, exec_lo, s14
	v_add_co_u32 v1, vcc_lo, v1, 8
	v_add_co_ci_u32_e64 v2, null, 0, v2, vcc_lo
	v_cmp_le_i64_e32 vcc_lo, s[10:11], v[1:2]
	s_or_b32 s13, vcc_lo, s13
	s_andn2_b32 exec_lo, exec_lo, s13
	s_cbranch_execz .LBB53_18
.LBB53_7:                               ; =>This Loop Header: Depth=1
                                        ;     Child Loop BB53_10 Depth 2
                                        ;       Child Loop BB53_13 Depth 3
	v_lshlrev_b64 v[3:4], 3, v[1:2]
	s_mov_b32 s14, exec_lo
	v_add_co_u32 v3, vcc_lo, s16, v3
	v_add_co_ci_u32_e64 v4, null, s17, v4, vcc_lo
	global_load_dwordx2 v[3:4], v[3:4], off
	s_waitcnt vmcnt(0)
	v_sub_co_u32 v3, vcc_lo, v3, s4
	v_subrev_co_ci_u32_e64 v4, null, 0, v4, vcc_lo
	v_lshlrev_b64 v[3:4], 3, v[3:4]
	v_add_co_u32 v3, vcc_lo, s18, v3
	v_add_co_ci_u32_e64 v4, null, s19, v4, vcc_lo
	global_load_dwordx4 v[5:8], v[3:4], off
	s_waitcnt vmcnt(0)
	v_sub_co_u32 v3, vcc_lo, v7, s5
	v_subrev_co_ci_u32_e64 v4, null, 0, v8, vcc_lo
	v_add_co_u32 v5, vcc_lo, v5, v13
	v_add_co_ci_u32_e64 v6, null, v6, v14, vcc_lo
	v_cmpx_lt_i64_e64 v[5:6], v[3:4]
	s_cbranch_execz .LBB53_6
; %bb.8:                                ;   in Loop: Header=BB53_7 Depth=1
	s_mov_b32 s15, 0
	s_branch .LBB53_10
.LBB53_9:                               ;   in Loop: Header=BB53_10 Depth=2
	s_inst_prefetch 0x2
	s_or_b32 exec_lo, exec_lo, s30
	v_add_co_u32 v5, vcc_lo, v5, 16
	v_add_co_ci_u32_e64 v6, null, 0, v6, vcc_lo
	v_cmp_ge_i64_e32 vcc_lo, v[5:6], v[3:4]
	s_or_b32 s15, vcc_lo, s15
	s_andn2_b32 exec_lo, exec_lo, s15
	s_cbranch_execz .LBB53_6
.LBB53_10:                              ;   Parent Loop BB53_7 Depth=1
                                        ; =>  This Loop Header: Depth=2
                                        ;       Child Loop BB53_13 Depth 3
	v_lshlrev_b64 v[7:8], 3, v[5:6]
	s_mov_b32 s30, 0
                                        ; implicit-def: $sgpr31
	v_add_co_u32 v7, vcc_lo, s20, v7
	v_add_co_ci_u32_e64 v8, null, s21, v8, vcc_lo
	global_load_dwordx2 v[7:8], v[7:8], off
	s_waitcnt vmcnt(0)
	v_sub_co_u32 v7, vcc_lo, v7, s5
	v_subrev_co_ci_u32_e64 v8, null, 0, v8, vcc_lo
	v_mul_lo_u32 v9, 0x89, v7
	v_and_b32_e32 v15, 0xff, v9
	s_inst_prefetch 0x1
	s_branch .LBB53_13
	.p2align	6
.LBB53_11:                              ;   in Loop: Header=BB53_13 Depth=3
	s_or_b32 exec_lo, exec_lo, s34
	s_andn2_b32 s31, s31, exec_lo
	s_and_b32 s34, s35, exec_lo
	s_or_b32 s31, s31, s34
.LBB53_12:                              ;   in Loop: Header=BB53_13 Depth=3
	s_or_b32 exec_lo, exec_lo, s33
	s_xor_b32 s33, s31, -1
	s_and_b32 s33, exec_lo, s33
	s_or_b32 s30, s33, s30
	s_andn2_b32 exec_lo, exec_lo, s30
	s_cbranch_execz .LBB53_9
.LBB53_13:                              ;   Parent Loop BB53_7 Depth=1
                                        ;     Parent Loop BB53_10 Depth=2
                                        ; =>    This Inner Loop Header: Depth=3
	v_lshl_add_u32 v16, v15, 3, 0
	s_andn2_b32 s31, s31, exec_lo
	s_mov_b32 s33, exec_lo
	ds_read_b64 v[9:10], v16
	s_waitcnt lgkmcnt(0)
	v_cmpx_ne_u64_e64 v[9:10], v[7:8]
	s_cbranch_execz .LBB53_12
; %bb.14:                               ;   in Loop: Header=BB53_13 Depth=3
	s_mov_b32 s34, exec_lo
	v_cmpx_ne_u64_e64 s[8:9], v[9:10]
	s_xor_b32 s34, exec_lo, s34
; %bb.15:                               ;   in Loop: Header=BB53_13 Depth=3
	v_add_nc_u32_e32 v9, 1, v15
                                        ; implicit-def: $vgpr16
	v_and_b32_e32 v15, 0xff, v9
; %bb.16:                               ;   in Loop: Header=BB53_13 Depth=3
	s_or_saveexec_b32 s34, s34
	s_mov_b32 s35, -1
	s_xor_b32 exec_lo, exec_lo, s34
	s_cbranch_execz .LBB53_11
; %bb.17:                               ;   in Loop: Header=BB53_13 Depth=3
	v_mov_b32_e32 v10, s9
	v_mov_b32_e32 v9, s8
	ds_cmpst_rtn_b64 v[9:10], v16, v[9:10], v[7:8]
	s_waitcnt lgkmcnt(0)
	v_cmp_ne_u64_e32 vcc_lo, s[8:9], v[9:10]
	s_orn2_b32 s35, vcc_lo, exec_lo
	s_branch .LBB53_11
.LBB53_18:
	s_or_b32 exec_lo, exec_lo, s12
.LBB53_19:
	s_bfe_u32 s1, s1, 0x10008
	s_cmp_eq_u32 s1, 0
	s_cbranch_scc1 .LBB53_22
; %bb.20:
	s_waitcnt lgkmcnt(0)
	s_lshl_b64 s[4:5], s[2:3], 3
	v_sub_co_u32 v1, s1, v0, s7
	s_add_u32 s4, s22, s4
	s_addc_u32 s5, s23, s5
	v_sub_co_ci_u32_e64 v2, null, 0, 0, s1
	s_load_dwordx4 s[12:15], s[4:5], 0x0
	s_mov_b32 s1, 0
	s_mov_b32 s10, s7
	s_waitcnt lgkmcnt(0)
	v_add_co_u32 v1, vcc_lo, s12, v1
	v_add_co_ci_u32_e64 v2, null, s13, v2, vcc_lo
	s_sub_u32 s4, s14, s7
	s_subb_u32 s5, s15, 0
	s_mov_b32 s7, exec_lo
	v_cmpx_gt_i64_e64 s[4:5], v[1:2]
	s_cbranch_execnz .LBB53_32
.LBB53_21:
	s_or_b32 exec_lo, exec_lo, s7
.LBB53_22:
	s_waitcnt lgkmcnt(0)
	s_barrier
	buffer_gl0_inv
	s_and_saveexec_b32 s4, s0
	s_cbranch_execz .LBB53_40
; %bb.23:
	v_mbcnt_lo_u32_b32 v1, -1, 0
	v_lshrrev_b32_e32 v2, 3, v0
	v_mov_b32_e32 v3, 0
	v_mov_b32_e32 v4, 0
	v_cmp_eq_u32_e64 s0, 0x7f, v0
	v_xor_b32_e32 v1, 31, v1
	v_and_b32_e32 v5, 8, v2
	v_mov_b32_e32 v2, 0
	s_mov_b32 s5, 0
	v_cmp_lt_u32_e32 vcc_lo, 63, v0
	v_lshrrev_b32_e64 v9, v1, -1
	v_add_nc_u32_e32 v10, 0, v5
	s_branch .LBB53_25
.LBB53_24:                              ;   in Loop: Header=BB53_25 Depth=1
	s_or_b32 exec_lo, exec_lo, s1
	s_waitcnt lgkmcnt(0)
	s_barrier
	buffer_gl0_inv
	ds_read_b64 v[5:6], v2 offset:2056
	v_add_co_u32 v11, s1, 0x80, v11
	s_xor_b32 s7, s1, -1
	v_add_nc_u32_e32 v12, 0x400, v12
	s_waitcnt lgkmcnt(0)
	v_add_co_u32 v3, s1, v5, v3
	v_add_co_ci_u32_e64 v4, null, v6, v4, s1
	s_and_b32 s1, exec_lo, s7
	s_or_b32 s5, s1, s5
	s_andn2_b32 exec_lo, exec_lo, s5
	s_cbranch_execz .LBB53_40
.LBB53_25:                              ; =>This Inner Loop Header: Depth=1
	ds_read_b64 v[5:6], v12
	s_waitcnt lgkmcnt(0)
	s_barrier
	buffer_gl0_inv
	v_cmp_gt_i64_e64 s1, s[8:9], v[5:6]
	v_and_b32_e32 v7, s1, v9
	s_bcnt1_i32_b32 s7, s1
	v_mov_b32_e32 v1, s7
	v_bcnt_u32_b32 v7, v7, 0
	ds_write_b64 v10, v[1:2] offset:2048
	s_waitcnt lgkmcnt(0)
	s_barrier
	buffer_gl0_inv
	s_and_saveexec_b32 s7, vcc_lo
	s_cbranch_execnz .LBB53_28
; %bb.26:                               ;   in Loop: Header=BB53_25 Depth=1
	s_or_b32 exec_lo, exec_lo, s7
	v_ashrrev_i32_e32 v8, 31, v7
	s_and_saveexec_b32 s7, s1
	s_cbranch_execnz .LBB53_29
.LBB53_27:                              ;   in Loop: Header=BB53_25 Depth=1
	s_or_b32 exec_lo, exec_lo, s7
	s_and_saveexec_b32 s1, s0
	s_cbranch_execz .LBB53_24
	s_branch .LBB53_30
.LBB53_28:                              ;   in Loop: Header=BB53_25 Depth=1
	ds_read_b32 v1, v2 offset:2048
	s_waitcnt lgkmcnt(0)
	v_add_nc_u32_e32 v7, v1, v7
	s_or_b32 exec_lo, exec_lo, s7
	v_ashrrev_i32_e32 v8, 31, v7
	s_and_saveexec_b32 s7, s1
	s_cbranch_execz .LBB53_27
.LBB53_29:                              ;   in Loop: Header=BB53_25 Depth=1
	v_lshlrev_b32_e32 v1, 3, v3
	v_lshlrev_b32_e32 v13, 3, v7
	v_add_nc_u32_e32 v1, 0, v1
	v_add3_u32 v1, v1, v13, -8
	ds_write_b64 v1, v[5:6]
	s_or_b32 exec_lo, exec_lo, s7
	s_and_saveexec_b32 s1, s0
	s_cbranch_execz .LBB53_24
.LBB53_30:                              ;   in Loop: Header=BB53_25 Depth=1
	ds_write_b64 v2, v[7:8] offset:2056
	s_branch .LBB53_24
.LBB53_31:                              ;   in Loop: Header=BB53_32 Depth=1
	s_inst_prefetch 0x2
	s_or_b32 exec_lo, exec_lo, s11
	v_add_co_u32 v1, vcc_lo, 0x80, v1
	v_add_co_ci_u32_e64 v2, null, 0, v2, vcc_lo
	v_cmp_le_i64_e32 vcc_lo, s[4:5], v[1:2]
	s_or_b32 s1, vcc_lo, s1
	s_andn2_b32 exec_lo, exec_lo, s1
	s_cbranch_execz .LBB53_21
.LBB53_32:                              ; =>This Loop Header: Depth=1
                                        ;     Child Loop BB53_35 Depth 2
	v_lshlrev_b64 v[3:4], 3, v[1:2]
	s_mov_b32 s11, 0
                                        ; implicit-def: $sgpr12
	v_add_co_u32 v3, vcc_lo, s24, v3
	v_add_co_ci_u32_e64 v4, null, s25, v4, vcc_lo
	global_load_dwordx2 v[3:4], v[3:4], off
	s_waitcnt vmcnt(0)
	v_sub_co_u32 v3, vcc_lo, v3, s10
	v_subrev_co_ci_u32_e64 v4, null, 0, v4, vcc_lo
	v_mul_lo_u32 v5, 0x89, v3
	v_and_b32_e32 v7, 0xff, v5
	s_inst_prefetch 0x1
	s_branch .LBB53_35
	.p2align	6
.LBB53_33:                              ;   in Loop: Header=BB53_35 Depth=2
	s_or_b32 exec_lo, exec_lo, s14
	s_andn2_b32 s12, s12, exec_lo
	s_and_b32 s14, s15, exec_lo
	s_or_b32 s12, s12, s14
.LBB53_34:                              ;   in Loop: Header=BB53_35 Depth=2
	s_or_b32 exec_lo, exec_lo, s13
	s_xor_b32 s13, s12, -1
	s_and_b32 s13, exec_lo, s13
	s_or_b32 s11, s13, s11
	s_andn2_b32 exec_lo, exec_lo, s11
	s_cbranch_execz .LBB53_31
.LBB53_35:                              ;   Parent Loop BB53_32 Depth=1
                                        ; =>  This Inner Loop Header: Depth=2
	v_lshl_add_u32 v8, v7, 3, 0
	s_andn2_b32 s12, s12, exec_lo
	s_mov_b32 s13, exec_lo
	ds_read_b64 v[5:6], v8
	s_waitcnt lgkmcnt(0)
	v_cmpx_ne_u64_e64 v[5:6], v[3:4]
	s_cbranch_execz .LBB53_34
; %bb.36:                               ;   in Loop: Header=BB53_35 Depth=2
	s_mov_b32 s14, exec_lo
	v_cmpx_ne_u64_e64 s[8:9], v[5:6]
	s_xor_b32 s14, exec_lo, s14
; %bb.37:                               ;   in Loop: Header=BB53_35 Depth=2
	v_add_nc_u32_e32 v5, 1, v7
                                        ; implicit-def: $vgpr8
	v_and_b32_e32 v7, 0xff, v5
; %bb.38:                               ;   in Loop: Header=BB53_35 Depth=2
	s_or_saveexec_b32 s14, s14
	s_mov_b32 s15, -1
	s_xor_b32 exec_lo, exec_lo, s14
	s_cbranch_execz .LBB53_33
; %bb.39:                               ;   in Loop: Header=BB53_35 Depth=2
	v_mov_b32_e32 v5, s8
	v_mov_b32_e32 v6, s9
	ds_cmpst_rtn_b64 v[5:6], v8, v[5:6], v[3:4]
	s_waitcnt lgkmcnt(0)
	v_cmp_ne_u64_e32 vcc_lo, s[8:9], v[5:6]
	s_orn2_b32 s15, vcc_lo, exec_lo
	s_branch .LBB53_33
.LBB53_40:
	s_or_b32 exec_lo, exec_lo, s4
	s_lshl_b64 s[0:1], s[2:3], 3
	v_mov_b32_e32 v1, 0
	s_add_u32 s0, s26, s0
	s_addc_u32 s1, s27, s1
	s_mov_b32 s7, exec_lo
	s_load_dwordx4 s[0:3], s[0:1], 0x0
	s_waitcnt lgkmcnt(0)
	s_sub_u32 s4, s2, s0
	s_subb_u32 s5, s3, s1
	v_cmpx_gt_i64_e64 s[4:5], v[0:1]
	s_cbranch_execz .LBB53_50
; %bb.41:
	s_sub_u32 s10, s0, s6
	s_subb_u32 s11, s1, 0
	s_and_b32 s8, s4, 7
	s_sub_u32 s0, s0, s2
	s_subb_u32 s1, s1, s3
	s_mov_b32 s9, 0
	v_cmp_lt_u64_e64 s7, s[0:1], -7
	s_and_b32 s2, s4, -8
	s_cmp_lg_u64 s[8:9], 0
	s_mov_b32 s3, s5
	s_cselect_b32 s14, -1, 0
	s_mov_b32 s15, s9
	s_branch .LBB53_43
.LBB53_42:                              ;   in Loop: Header=BB53_43 Depth=1
	v_add_co_u32 v0, vcc_lo, 0x80, v0
	v_lshlrev_b64 v[4:5], 3, v[4:5]
	v_add_co_ci_u32_e64 v1, null, 0, v1, vcc_lo
	s_waitcnt lgkmcnt(0)
	v_add_co_u32 v2, vcc_lo, v2, s6
	v_add_co_ci_u32_e64 v3, null, 0, v3, vcc_lo
	v_cmp_le_i64_e32 vcc_lo, s[4:5], v[0:1]
	v_add_co_u32 v4, s0, s28, v4
	v_add_co_ci_u32_e64 v5, null, s29, v5, s0
	s_or_b32 s15, vcc_lo, s15
	global_store_dwordx2 v[4:5], v[2:3], off
	s_andn2_b32 exec_lo, exec_lo, s15
	s_cbranch_execz .LBB53_50
.LBB53_43:                              ; =>This Loop Header: Depth=1
                                        ;     Child Loop BB53_45 Depth 2
                                        ;     Child Loop BB53_49 Depth 2
	v_lshl_add_u32 v2, v0, 3, 0
	v_mov_b32_e32 v4, s10
	v_mov_b32_e32 v5, s11
	s_andn2_b32 vcc_lo, exec_lo, s7
	s_mov_b64 s[0:1], 0
	ds_read_b64 v[2:3], v2
	s_cbranch_vccnz .LBB53_47
; %bb.44:                               ;   in Loop: Header=BB53_43 Depth=1
	v_mov_b32_e32 v4, s10
	v_mov_b32_e32 v5, s11
	s_mov_b64 s[12:13], 0
	s_mov_b32 s1, 0
.LBB53_45:                              ;   Parent Loop BB53_43 Depth=1
                                        ; =>  This Inner Loop Header: Depth=2
	v_mov_b32_e32 v18, s1
	s_add_u32 s12, s12, 8
	s_addc_u32 s13, s13, 0
	s_add_i32 s1, s1, 64
	s_cmp_eq_u64 s[2:3], s[12:13]
	ds_read2_b64 v[6:9], v18 offset1:1
	ds_read2_b64 v[10:13], v18 offset0:2 offset1:3
	ds_read2_b64 v[14:17], v18 offset0:4 offset1:5
	;; [unrolled: 1-line block ×3, first 2 shown]
	s_waitcnt lgkmcnt(3)
	v_cmp_gt_i64_e32 vcc_lo, v[2:3], v[6:7]
	v_cndmask_b32_e64 v6, 0, 1, vcc_lo
	v_cmp_gt_i64_e32 vcc_lo, v[2:3], v[8:9]
	v_cndmask_b32_e64 v7, 0, 1, vcc_lo
	s_waitcnt lgkmcnt(2)
	v_cmp_gt_i64_e32 vcc_lo, v[2:3], v[10:11]
	v_cndmask_b32_e64 v8, 0, 1, vcc_lo
	v_cmp_gt_i64_e32 vcc_lo, v[2:3], v[12:13]
	v_cndmask_b32_e64 v9, 0, 1, vcc_lo
	s_waitcnt lgkmcnt(1)
	v_cmp_gt_i64_e32 vcc_lo, v[2:3], v[14:15]
	v_cndmask_b32_e64 v10, 0, 1, vcc_lo
	v_add_co_u32 v4, vcc_lo, v4, v6
	v_add_co_ci_u32_e64 v5, null, 0, v5, vcc_lo
	v_cmp_gt_i64_e32 vcc_lo, v[2:3], v[16:17]
	v_add_co_u32 v4, s0, v4, v7
	v_add_co_ci_u32_e64 v5, null, 0, v5, s0
	v_cndmask_b32_e64 v6, 0, 1, vcc_lo
	v_add_co_u32 v4, vcc_lo, v4, v8
	v_add_co_ci_u32_e64 v5, null, 0, v5, vcc_lo
	s_waitcnt lgkmcnt(0)
	v_cmp_gt_i64_e32 vcc_lo, v[2:3], v[18:19]
	v_add_co_u32 v4, s0, v4, v9
	v_add_co_ci_u32_e64 v5, null, 0, v5, s0
	v_cndmask_b32_e64 v7, 0, 1, vcc_lo
	v_add_co_u32 v4, vcc_lo, v4, v10
	v_add_co_ci_u32_e64 v5, null, 0, v5, vcc_lo
	v_cmp_gt_i64_e32 vcc_lo, v[2:3], v[20:21]
	v_add_co_u32 v4, s0, v4, v6
	v_add_co_ci_u32_e64 v5, null, 0, v5, s0
	v_cndmask_b32_e64 v6, 0, 1, vcc_lo
	v_add_co_u32 v4, vcc_lo, v4, v7
	v_add_co_ci_u32_e64 v5, null, 0, v5, vcc_lo
	v_add_co_u32 v4, vcc_lo, v4, v6
	v_add_co_ci_u32_e64 v5, null, 0, v5, vcc_lo
	s_cbranch_scc0 .LBB53_45
; %bb.46:                               ;   in Loop: Header=BB53_43 Depth=1
	s_mov_b64 s[0:1], s[2:3]
.LBB53_47:                              ;   in Loop: Header=BB53_43 Depth=1
	s_andn2_b32 vcc_lo, exec_lo, s14
	s_cbranch_vccnz .LBB53_42
; %bb.48:                               ;   in Loop: Header=BB53_43 Depth=1
	s_lshl_b32 s0, s0, 3
	s_add_i32 s12, s0, 0
	s_mov_b64 s[0:1], s[8:9]
.LBB53_49:                              ;   Parent Loop BB53_43 Depth=1
                                        ; =>  This Inner Loop Header: Depth=2
	v_mov_b32_e32 v6, s12
	s_add_i32 s12, s12, 8
	s_add_u32 s0, s0, -1
	s_addc_u32 s1, s1, -1
	s_cmp_lg_u64 s[0:1], 0
	ds_read_b64 v[6:7], v6
	s_waitcnt lgkmcnt(0)
	v_cmp_gt_i64_e32 vcc_lo, v[2:3], v[6:7]
	v_cndmask_b32_e64 v6, 0, 1, vcc_lo
	v_add_co_u32 v4, vcc_lo, v4, v6
	v_add_co_ci_u32_e64 v5, null, 0, v5, vcc_lo
	s_cbranch_scc1 .LBB53_49
	s_branch .LBB53_42
.LBB53_50:
	s_endpgm
	.section	.rodata,"a",@progbits
	.p2align	6, 0x0
	.amdhsa_kernel _ZN9rocsparseL35csrgemm_symbolic_fill_block_per_rowILj128ELj16ELj256ELj137ELj64EllEEvT5_PKS1_S3_PKT4_S3_S6_S3_S6_S3_S6_PS1_21rocsparse_index_base_S8_S8_S8_bb
		.amdhsa_group_segment_fixed_size 0
		.amdhsa_private_segment_fixed_size 0
		.amdhsa_kernarg_size 108
		.amdhsa_user_sgpr_count 6
		.amdhsa_user_sgpr_private_segment_buffer 1
		.amdhsa_user_sgpr_dispatch_ptr 0
		.amdhsa_user_sgpr_queue_ptr 0
		.amdhsa_user_sgpr_kernarg_segment_ptr 1
		.amdhsa_user_sgpr_dispatch_id 0
		.amdhsa_user_sgpr_flat_scratch_init 0
		.amdhsa_user_sgpr_private_segment_size 0
		.amdhsa_wavefront_size32 1
		.amdhsa_uses_dynamic_stack 0
		.amdhsa_system_sgpr_private_segment_wavefront_offset 0
		.amdhsa_system_sgpr_workgroup_id_x 1
		.amdhsa_system_sgpr_workgroup_id_y 0
		.amdhsa_system_sgpr_workgroup_id_z 0
		.amdhsa_system_sgpr_workgroup_info 0
		.amdhsa_system_vgpr_workitem_id 0
		.amdhsa_next_free_vgpr 22
		.amdhsa_next_free_sgpr 36
		.amdhsa_reserve_vcc 1
		.amdhsa_reserve_flat_scratch 0
		.amdhsa_float_round_mode_32 0
		.amdhsa_float_round_mode_16_64 0
		.amdhsa_float_denorm_mode_32 3
		.amdhsa_float_denorm_mode_16_64 3
		.amdhsa_dx10_clamp 1
		.amdhsa_ieee_mode 1
		.amdhsa_fp16_overflow 0
		.amdhsa_workgroup_processor_mode 1
		.amdhsa_memory_ordered 1
		.amdhsa_forward_progress 1
		.amdhsa_shared_vgpr_count 0
		.amdhsa_exception_fp_ieee_invalid_op 0
		.amdhsa_exception_fp_denorm_src 0
		.amdhsa_exception_fp_ieee_div_zero 0
		.amdhsa_exception_fp_ieee_overflow 0
		.amdhsa_exception_fp_ieee_underflow 0
		.amdhsa_exception_fp_ieee_inexact 0
		.amdhsa_exception_int_div_zero 0
	.end_amdhsa_kernel
	.section	.text._ZN9rocsparseL35csrgemm_symbolic_fill_block_per_rowILj128ELj16ELj256ELj137ELj64EllEEvT5_PKS1_S3_PKT4_S3_S6_S3_S6_S3_S6_PS1_21rocsparse_index_base_S8_S8_S8_bb,"axG",@progbits,_ZN9rocsparseL35csrgemm_symbolic_fill_block_per_rowILj128ELj16ELj256ELj137ELj64EllEEvT5_PKS1_S3_PKT4_S3_S6_S3_S6_S3_S6_PS1_21rocsparse_index_base_S8_S8_S8_bb,comdat
.Lfunc_end53:
	.size	_ZN9rocsparseL35csrgemm_symbolic_fill_block_per_rowILj128ELj16ELj256ELj137ELj64EllEEvT5_PKS1_S3_PKT4_S3_S6_S3_S6_S3_S6_PS1_21rocsparse_index_base_S8_S8_S8_bb, .Lfunc_end53-_ZN9rocsparseL35csrgemm_symbolic_fill_block_per_rowILj128ELj16ELj256ELj137ELj64EllEEvT5_PKS1_S3_PKT4_S3_S6_S3_S6_S3_S6_PS1_21rocsparse_index_base_S8_S8_S8_bb
                                        ; -- End function
	.set _ZN9rocsparseL35csrgemm_symbolic_fill_block_per_rowILj128ELj16ELj256ELj137ELj64EllEEvT5_PKS1_S3_PKT4_S3_S6_S3_S6_S3_S6_PS1_21rocsparse_index_base_S8_S8_S8_bb.num_vgpr, 22
	.set _ZN9rocsparseL35csrgemm_symbolic_fill_block_per_rowILj128ELj16ELj256ELj137ELj64EllEEvT5_PKS1_S3_PKT4_S3_S6_S3_S6_S3_S6_PS1_21rocsparse_index_base_S8_S8_S8_bb.num_agpr, 0
	.set _ZN9rocsparseL35csrgemm_symbolic_fill_block_per_rowILj128ELj16ELj256ELj137ELj64EllEEvT5_PKS1_S3_PKT4_S3_S6_S3_S6_S3_S6_PS1_21rocsparse_index_base_S8_S8_S8_bb.numbered_sgpr, 36
	.set _ZN9rocsparseL35csrgemm_symbolic_fill_block_per_rowILj128ELj16ELj256ELj137ELj64EllEEvT5_PKS1_S3_PKT4_S3_S6_S3_S6_S3_S6_PS1_21rocsparse_index_base_S8_S8_S8_bb.num_named_barrier, 0
	.set _ZN9rocsparseL35csrgemm_symbolic_fill_block_per_rowILj128ELj16ELj256ELj137ELj64EllEEvT5_PKS1_S3_PKT4_S3_S6_S3_S6_S3_S6_PS1_21rocsparse_index_base_S8_S8_S8_bb.private_seg_size, 0
	.set _ZN9rocsparseL35csrgemm_symbolic_fill_block_per_rowILj128ELj16ELj256ELj137ELj64EllEEvT5_PKS1_S3_PKT4_S3_S6_S3_S6_S3_S6_PS1_21rocsparse_index_base_S8_S8_S8_bb.uses_vcc, 1
	.set _ZN9rocsparseL35csrgemm_symbolic_fill_block_per_rowILj128ELj16ELj256ELj137ELj64EllEEvT5_PKS1_S3_PKT4_S3_S6_S3_S6_S3_S6_PS1_21rocsparse_index_base_S8_S8_S8_bb.uses_flat_scratch, 0
	.set _ZN9rocsparseL35csrgemm_symbolic_fill_block_per_rowILj128ELj16ELj256ELj137ELj64EllEEvT5_PKS1_S3_PKT4_S3_S6_S3_S6_S3_S6_PS1_21rocsparse_index_base_S8_S8_S8_bb.has_dyn_sized_stack, 0
	.set _ZN9rocsparseL35csrgemm_symbolic_fill_block_per_rowILj128ELj16ELj256ELj137ELj64EllEEvT5_PKS1_S3_PKT4_S3_S6_S3_S6_S3_S6_PS1_21rocsparse_index_base_S8_S8_S8_bb.has_recursion, 0
	.set _ZN9rocsparseL35csrgemm_symbolic_fill_block_per_rowILj128ELj16ELj256ELj137ELj64EllEEvT5_PKS1_S3_PKT4_S3_S6_S3_S6_S3_S6_PS1_21rocsparse_index_base_S8_S8_S8_bb.has_indirect_call, 0
	.section	.AMDGPU.csdata,"",@progbits
; Kernel info:
; codeLenInByte = 2336
; TotalNumSgprs: 38
; NumVgprs: 22
; ScratchSize: 0
; MemoryBound: 0
; FloatMode: 240
; IeeeMode: 1
; LDSByteSize: 0 bytes/workgroup (compile time only)
; SGPRBlocks: 0
; VGPRBlocks: 2
; NumSGPRsForWavesPerEU: 38
; NumVGPRsForWavesPerEU: 22
; Occupancy: 16
; WaveLimiterHint : 1
; COMPUTE_PGM_RSRC2:SCRATCH_EN: 0
; COMPUTE_PGM_RSRC2:USER_SGPR: 6
; COMPUTE_PGM_RSRC2:TRAP_HANDLER: 0
; COMPUTE_PGM_RSRC2:TGID_X_EN: 1
; COMPUTE_PGM_RSRC2:TGID_Y_EN: 0
; COMPUTE_PGM_RSRC2:TGID_Z_EN: 0
; COMPUTE_PGM_RSRC2:TIDIG_COMP_CNT: 0
	.section	.text._ZN9rocsparseL35csrgemm_symbolic_fill_block_per_rowILj256ELj32ELj512ELj137ELj32EllEEvT5_PKS1_S3_PKT4_S3_S6_S3_S6_S3_S6_PS1_21rocsparse_index_base_S8_S8_S8_bb,"axG",@progbits,_ZN9rocsparseL35csrgemm_symbolic_fill_block_per_rowILj256ELj32ELj512ELj137ELj32EllEEvT5_PKS1_S3_PKT4_S3_S6_S3_S6_S3_S6_PS1_21rocsparse_index_base_S8_S8_S8_bb,comdat
	.globl	_ZN9rocsparseL35csrgemm_symbolic_fill_block_per_rowILj256ELj32ELj512ELj137ELj32EllEEvT5_PKS1_S3_PKT4_S3_S6_S3_S6_S3_S6_PS1_21rocsparse_index_base_S8_S8_S8_bb ; -- Begin function _ZN9rocsparseL35csrgemm_symbolic_fill_block_per_rowILj256ELj32ELj512ELj137ELj32EllEEvT5_PKS1_S3_PKT4_S3_S6_S3_S6_S3_S6_PS1_21rocsparse_index_base_S8_S8_S8_bb
	.p2align	8
	.type	_ZN9rocsparseL35csrgemm_symbolic_fill_block_per_rowILj256ELj32ELj512ELj137ELj32EllEEvT5_PKS1_S3_PKT4_S3_S6_S3_S6_S3_S6_PS1_21rocsparse_index_base_S8_S8_S8_bb,@function
_ZN9rocsparseL35csrgemm_symbolic_fill_block_per_rowILj256ELj32ELj512ELj137ELj32EllEEvT5_PKS1_S3_PKT4_S3_S6_S3_S6_S3_S6_PS1_21rocsparse_index_base_S8_S8_S8_bb: ; @_ZN9rocsparseL35csrgemm_symbolic_fill_block_per_rowILj256ELj32ELj512ELj137ELj32EllEEvT5_PKS1_S3_PKT4_S3_S6_S3_S6_S3_S6_PS1_21rocsparse_index_base_S8_S8_S8_bb
; %bb.0:
	s_clause 0x3
	s_load_dwordx2 s[34:35], s[4:5], 0x50
	s_load_dwordx4 s[28:31], s[4:5], 0x40
	s_load_dwordx8 s[8:15], s[4:5], 0x0
	s_load_dwordx8 s[16:23], s[4:5], 0x20
	v_cmp_gt_u32_e64 s0, 0x200, v0
	v_or_b32_e32 v11, 0xffffff00, v0
	v_lshl_add_u32 v12, v0, 3, 0
	s_and_saveexec_b32 s1, s0
	s_cbranch_execz .LBB54_3
; %bb.1:
	s_waitcnt lgkmcnt(0)
	v_mov_b32_e32 v1, s8
	v_or_b32_e32 v3, 0xffffff00, v0
	v_lshl_add_u32 v4, v0, 3, 0
	v_mov_b32_e32 v2, s9
	s_mov_b32 s2, 0
.LBB54_2:                               ; =>This Inner Loop Header: Depth=1
	v_add_co_u32 v3, s3, 0x100, v3
	s_xor_b32 s3, s3, -1
	ds_write_b64 v4, v[1:2]
	v_add_nc_u32_e32 v4, 0x800, v4
	s_and_b32 s3, exec_lo, s3
	s_or_b32 s2, s3, s2
	s_andn2_b32 exec_lo, exec_lo, s2
	s_cbranch_execnz .LBB54_2
.LBB54_3:
	s_or_b32 exec_lo, exec_lo, s1
	s_load_dword s1, s[4:5], 0x68
	s_waitcnt lgkmcnt(0)
	s_barrier
	buffer_gl0_inv
	s_load_dwordx2 s[2:3], s[10:11], 0x0
	s_mov_b32 s7, 0
	v_lshrrev_b32_e32 v13, 5, v0
	s_bitcmp1_b32 s1, 0
	s_cselect_b32 s33, -1, 0
	s_waitcnt lgkmcnt(0)
	s_lshl_b64 s[2:3], s[2:3], 3
	s_add_u32 s10, s12, s2
	s_addc_u32 s11, s13, s3
	s_lshl_b64 s[2:3], s[6:7], 3
	s_add_u32 s2, s10, s2
	s_addc_u32 s3, s11, s3
	s_load_dwordx4 s[24:27], s[4:5], 0x58
	s_load_dwordx2 s[10:11], s[2:3], 0x0
	s_and_b32 vcc_lo, exec_lo, s33
	s_cbranch_vccz .LBB54_19
; %bb.4:
	s_waitcnt lgkmcnt(0)
	s_lshl_b64 s[2:3], s[10:11], 3
	s_add_u32 s2, s14, s2
	s_addc_u32 s3, s15, s3
	s_load_dwordx4 s[4:7], s[2:3], 0x0
	v_sub_co_u32 v1, s2, v13, s24
	v_sub_co_ci_u32_e64 v2, null, 0, 0, s2
	s_waitcnt lgkmcnt(0)
	v_add_co_u32 v1, vcc_lo, s4, v1
	v_add_co_ci_u32_e64 v2, null, s5, v2, vcc_lo
	s_sub_u32 s2, s6, s24
	s_subb_u32 s3, s7, 0
	s_mov_b32 s4, exec_lo
	v_cmpx_gt_i64_e64 s[2:3], v[1:2]
	s_cbranch_execz .LBB54_18
; %bb.5:
	v_and_b32_e32 v3, 31, v0
	s_mov_b32 s6, s25
	v_sub_co_u32 v14, s5, v3, s25
	v_sub_co_ci_u32_e64 v15, null, 0, 0, s5
	s_mov_b32 s5, 0
	s_branch .LBB54_7
.LBB54_6:                               ;   in Loop: Header=BB54_7 Depth=1
	s_or_b32 exec_lo, exec_lo, s7
	v_add_co_u32 v1, vcc_lo, v1, 8
	v_add_co_ci_u32_e64 v2, null, 0, v2, vcc_lo
	v_cmp_le_i64_e32 vcc_lo, s[2:3], v[1:2]
	s_or_b32 s5, vcc_lo, s5
	s_andn2_b32 exec_lo, exec_lo, s5
	s_cbranch_execz .LBB54_18
.LBB54_7:                               ; =>This Loop Header: Depth=1
                                        ;     Child Loop BB54_10 Depth 2
                                        ;       Child Loop BB54_13 Depth 3
	v_lshlrev_b64 v[3:4], 3, v[1:2]
	s_mov_b32 s7, exec_lo
	v_add_co_u32 v3, vcc_lo, s16, v3
	v_add_co_ci_u32_e64 v4, null, s17, v4, vcc_lo
	global_load_dwordx2 v[3:4], v[3:4], off
	s_waitcnt vmcnt(0)
	v_sub_co_u32 v3, vcc_lo, v3, s24
	v_subrev_co_ci_u32_e64 v4, null, 0, v4, vcc_lo
	v_lshlrev_b64 v[3:4], 3, v[3:4]
	v_add_co_u32 v3, vcc_lo, s18, v3
	v_add_co_ci_u32_e64 v4, null, s19, v4, vcc_lo
	global_load_dwordx4 v[5:8], v[3:4], off
	s_waitcnt vmcnt(0)
	v_sub_co_u32 v3, vcc_lo, v7, s6
	v_subrev_co_ci_u32_e64 v4, null, 0, v8, vcc_lo
	v_add_co_u32 v5, vcc_lo, v5, v14
	v_add_co_ci_u32_e64 v6, null, v6, v15, vcc_lo
	v_cmpx_lt_i64_e64 v[5:6], v[3:4]
	s_cbranch_execz .LBB54_6
; %bb.8:                                ;   in Loop: Header=BB54_7 Depth=1
	s_mov_b32 s12, 0
	s_branch .LBB54_10
.LBB54_9:                               ;   in Loop: Header=BB54_10 Depth=2
	s_inst_prefetch 0x2
	s_or_b32 exec_lo, exec_lo, s13
	v_add_co_u32 v5, vcc_lo, v5, 32
	v_add_co_ci_u32_e64 v6, null, 0, v6, vcc_lo
	v_cmp_ge_i64_e32 vcc_lo, v[5:6], v[3:4]
	s_or_b32 s12, vcc_lo, s12
	s_andn2_b32 exec_lo, exec_lo, s12
	s_cbranch_execz .LBB54_6
.LBB54_10:                              ;   Parent Loop BB54_7 Depth=1
                                        ; =>  This Loop Header: Depth=2
                                        ;       Child Loop BB54_13 Depth 3
	v_lshlrev_b64 v[7:8], 3, v[5:6]
	s_mov_b32 s13, 0
                                        ; implicit-def: $sgpr14
	v_add_co_u32 v7, vcc_lo, s20, v7
	v_add_co_ci_u32_e64 v8, null, s21, v8, vcc_lo
	global_load_dwordx2 v[7:8], v[7:8], off
	s_waitcnt vmcnt(0)
	v_sub_co_u32 v7, vcc_lo, v7, s6
	v_subrev_co_ci_u32_e64 v8, null, 0, v8, vcc_lo
	v_mul_lo_u32 v9, 0x89, v7
	v_and_b32_e32 v16, 0x1ff, v9
	s_inst_prefetch 0x1
	s_branch .LBB54_13
	.p2align	6
.LBB54_11:                              ;   in Loop: Header=BB54_13 Depth=3
	s_or_b32 exec_lo, exec_lo, s25
	s_andn2_b32 s14, s14, exec_lo
	s_and_b32 s25, s33, exec_lo
	s_or_b32 s14, s14, s25
.LBB54_12:                              ;   in Loop: Header=BB54_13 Depth=3
	s_or_b32 exec_lo, exec_lo, s15
	s_xor_b32 s15, s14, -1
	s_and_b32 s15, exec_lo, s15
	s_or_b32 s13, s15, s13
	s_andn2_b32 exec_lo, exec_lo, s13
	s_cbranch_execz .LBB54_9
.LBB54_13:                              ;   Parent Loop BB54_7 Depth=1
                                        ;     Parent Loop BB54_10 Depth=2
                                        ; =>    This Inner Loop Header: Depth=3
	v_lshl_add_u32 v17, v16, 3, 0
	s_andn2_b32 s14, s14, exec_lo
	s_mov_b32 s15, exec_lo
	ds_read_b64 v[9:10], v17
	s_waitcnt lgkmcnt(0)
	v_cmpx_ne_u64_e64 v[9:10], v[7:8]
	s_cbranch_execz .LBB54_12
; %bb.14:                               ;   in Loop: Header=BB54_13 Depth=3
	s_mov_b32 s25, exec_lo
	v_cmpx_ne_u64_e64 s[8:9], v[9:10]
	s_xor_b32 s25, exec_lo, s25
; %bb.15:                               ;   in Loop: Header=BB54_13 Depth=3
	v_add_nc_u32_e32 v9, 1, v16
                                        ; implicit-def: $vgpr17
	v_and_b32_e32 v16, 0x1ff, v9
; %bb.16:                               ;   in Loop: Header=BB54_13 Depth=3
	s_or_saveexec_b32 s25, s25
	s_mov_b32 s33, -1
	s_xor_b32 exec_lo, exec_lo, s25
	s_cbranch_execz .LBB54_11
; %bb.17:                               ;   in Loop: Header=BB54_13 Depth=3
	v_mov_b32_e32 v10, s9
	v_mov_b32_e32 v9, s8
	ds_cmpst_rtn_b64 v[9:10], v17, v[9:10], v[7:8]
	s_waitcnt lgkmcnt(0)
	v_cmp_ne_u64_e32 vcc_lo, s[8:9], v[9:10]
	s_orn2_b32 s33, vcc_lo, exec_lo
	s_branch .LBB54_11
.LBB54_18:
	s_or_b32 exec_lo, exec_lo, s4
.LBB54_19:
	s_bfe_u32 s1, s1, 0x10008
	s_cmp_eq_u32 s1, 0
	s_cbranch_scc1 .LBB54_32
; %bb.20:
	s_waitcnt lgkmcnt(0)
	s_lshl_b64 s[2:3], s[10:11], 3
	v_sub_co_u32 v1, s1, v0, s27
	s_add_u32 s2, s22, s2
	s_addc_u32 s3, s23, s3
	v_sub_co_ci_u32_e64 v2, null, 0, 0, s1
	s_load_dwordx4 s[4:7], s[2:3], 0x0
	s_mov_b32 s1, 0
	s_waitcnt lgkmcnt(0)
	v_add_co_u32 v1, vcc_lo, s4, v1
	v_add_co_ci_u32_e64 v2, null, s5, v2, vcc_lo
	s_sub_u32 s2, s6, s27
	s_subb_u32 s3, s7, 0
	s_mov_b32 s4, exec_lo
	v_cmpx_gt_i64_e64 s[2:3], v[1:2]
	s_cbranch_execz .LBB54_31
; %bb.21:
	s_mov_b32 s5, s27
	s_branch .LBB54_23
.LBB54_22:                              ;   in Loop: Header=BB54_23 Depth=1
	s_inst_prefetch 0x2
	s_or_b32 exec_lo, exec_lo, s6
	v_add_co_u32 v1, vcc_lo, 0x100, v1
	v_add_co_ci_u32_e64 v2, null, 0, v2, vcc_lo
	v_cmp_le_i64_e32 vcc_lo, s[2:3], v[1:2]
	s_or_b32 s1, vcc_lo, s1
	s_andn2_b32 exec_lo, exec_lo, s1
	s_cbranch_execz .LBB54_31
.LBB54_23:                              ; =>This Loop Header: Depth=1
                                        ;     Child Loop BB54_26 Depth 2
	v_lshlrev_b64 v[3:4], 3, v[1:2]
	s_mov_b32 s6, 0
                                        ; implicit-def: $sgpr7
	v_add_co_u32 v3, vcc_lo, s28, v3
	v_add_co_ci_u32_e64 v4, null, s29, v4, vcc_lo
	global_load_dwordx2 v[3:4], v[3:4], off
	s_waitcnt vmcnt(0)
	v_sub_co_u32 v3, vcc_lo, v3, s5
	v_subrev_co_ci_u32_e64 v4, null, 0, v4, vcc_lo
	v_mul_lo_u32 v5, 0x89, v3
	v_and_b32_e32 v7, 0x1ff, v5
	s_inst_prefetch 0x1
	s_branch .LBB54_26
	.p2align	6
.LBB54_24:                              ;   in Loop: Header=BB54_26 Depth=2
	s_or_b32 exec_lo, exec_lo, s13
	s_andn2_b32 s7, s7, exec_lo
	s_and_b32 s13, s14, exec_lo
	s_or_b32 s7, s7, s13
.LBB54_25:                              ;   in Loop: Header=BB54_26 Depth=2
	s_or_b32 exec_lo, exec_lo, s12
	s_xor_b32 s12, s7, -1
	s_and_b32 s12, exec_lo, s12
	s_or_b32 s6, s12, s6
	s_andn2_b32 exec_lo, exec_lo, s6
	s_cbranch_execz .LBB54_22
.LBB54_26:                              ;   Parent Loop BB54_23 Depth=1
                                        ; =>  This Inner Loop Header: Depth=2
	v_lshl_add_u32 v8, v7, 3, 0
	s_andn2_b32 s7, s7, exec_lo
	s_mov_b32 s12, exec_lo
	ds_read_b64 v[5:6], v8
	s_waitcnt lgkmcnt(0)
	v_cmpx_ne_u64_e64 v[5:6], v[3:4]
	s_cbranch_execz .LBB54_25
; %bb.27:                               ;   in Loop: Header=BB54_26 Depth=2
	s_mov_b32 s13, exec_lo
	v_cmpx_ne_u64_e64 s[8:9], v[5:6]
	s_xor_b32 s13, exec_lo, s13
; %bb.28:                               ;   in Loop: Header=BB54_26 Depth=2
	v_add_nc_u32_e32 v5, 1, v7
                                        ; implicit-def: $vgpr8
	v_and_b32_e32 v7, 0x1ff, v5
; %bb.29:                               ;   in Loop: Header=BB54_26 Depth=2
	s_or_saveexec_b32 s13, s13
	s_mov_b32 s14, -1
	s_xor_b32 exec_lo, exec_lo, s13
	s_cbranch_execz .LBB54_24
; %bb.30:                               ;   in Loop: Header=BB54_26 Depth=2
	v_mov_b32_e32 v5, s8
	v_mov_b32_e32 v6, s9
	ds_cmpst_rtn_b64 v[5:6], v8, v[5:6], v[3:4]
	s_waitcnt lgkmcnt(0)
	v_cmp_ne_u64_e32 vcc_lo, s[8:9], v[5:6]
	s_orn2_b32 s14, vcc_lo, exec_lo
	s_branch .LBB54_24
.LBB54_31:
	s_or_b32 exec_lo, exec_lo, s4
.LBB54_32:
	s_waitcnt lgkmcnt(0)
	s_barrier
	buffer_gl0_inv
	s_and_saveexec_b32 s12, s0
	s_cbranch_execz .LBB54_53
; %bb.33:
	v_mbcnt_lo_u32_b32 v1, -1, 0
	v_mov_b32_e32 v3, 0
	v_mov_b32_e32 v2, 0
	v_lshl_add_u32 v9, v13, 3, 0
	v_cmp_lt_u32_e64 s0, 31, v0
	v_xor_b32_e32 v1, 31, v1
	v_cmp_lt_u32_e64 s1, 63, v0
	v_cmp_lt_u32_e64 s2, 0x5f, v0
	;; [unrolled: 1-line block ×4, first 2 shown]
	v_lshrrev_b32_e64 v10, v1, -1
	v_cmp_lt_u32_e64 s5, 0xbf, v0
	v_mov_b32_e32 v4, 0
	v_cmp_lt_u32_e64 s6, 0xdf, v0
	s_mov_b32 s13, 0
	v_cmp_eq_u32_e32 vcc_lo, 0xff, v0
	s_branch .LBB54_35
.LBB54_34:                              ;   in Loop: Header=BB54_35 Depth=1
	s_or_b32 exec_lo, exec_lo, s7
	s_waitcnt lgkmcnt(0)
	s_barrier
	buffer_gl0_inv
	ds_read_b64 v[5:6], v2 offset:4152
	v_add_co_u32 v11, s7, 0x100, v11
	s_xor_b32 s14, s7, -1
	v_add_nc_u32_e32 v12, 0x800, v12
	s_waitcnt lgkmcnt(0)
	v_add_co_u32 v3, s7, v5, v3
	v_add_co_ci_u32_e64 v4, null, v6, v4, s7
	s_and_b32 s7, exec_lo, s14
	s_or_b32 s13, s7, s13
	s_andn2_b32 exec_lo, exec_lo, s13
	s_cbranch_execz .LBB54_53
.LBB54_35:                              ; =>This Inner Loop Header: Depth=1
	ds_read_b64 v[5:6], v12
	s_waitcnt lgkmcnt(0)
	s_barrier
	buffer_gl0_inv
	v_cmp_gt_i64_e64 s7, s[8:9], v[5:6]
	v_and_b32_e32 v7, s7, v10
	s_bcnt1_i32_b32 s14, s7
	v_mov_b32_e32 v1, s14
	v_bcnt_u32_b32 v7, v7, 0
	ds_write_b64 v9, v[1:2] offset:4096
	s_waitcnt lgkmcnt(0)
	s_barrier
	buffer_gl0_inv
	s_and_saveexec_b32 s14, s0
	s_cbranch_execnz .LBB54_44
; %bb.36:                               ;   in Loop: Header=BB54_35 Depth=1
	s_or_b32 exec_lo, exec_lo, s14
	s_and_saveexec_b32 s14, s1
	s_cbranch_execnz .LBB54_45
.LBB54_37:                              ;   in Loop: Header=BB54_35 Depth=1
	s_or_b32 exec_lo, exec_lo, s14
	s_and_saveexec_b32 s14, s2
	s_cbranch_execnz .LBB54_46
.LBB54_38:                              ;   in Loop: Header=BB54_35 Depth=1
	s_or_b32 exec_lo, exec_lo, s14
	s_and_saveexec_b32 s14, s3
	s_cbranch_execnz .LBB54_47
.LBB54_39:                              ;   in Loop: Header=BB54_35 Depth=1
	s_or_b32 exec_lo, exec_lo, s14
	s_and_saveexec_b32 s14, s4
	s_cbranch_execnz .LBB54_48
.LBB54_40:                              ;   in Loop: Header=BB54_35 Depth=1
	s_or_b32 exec_lo, exec_lo, s14
	s_and_saveexec_b32 s14, s5
	s_cbranch_execnz .LBB54_49
.LBB54_41:                              ;   in Loop: Header=BB54_35 Depth=1
	s_or_b32 exec_lo, exec_lo, s14
	s_and_saveexec_b32 s14, s6
	s_cbranch_execnz .LBB54_50
.LBB54_42:                              ;   in Loop: Header=BB54_35 Depth=1
	s_or_b32 exec_lo, exec_lo, s14
	v_ashrrev_i32_e32 v8, 31, v7
	s_and_saveexec_b32 s14, s7
	s_cbranch_execnz .LBB54_51
.LBB54_43:                              ;   in Loop: Header=BB54_35 Depth=1
	s_or_b32 exec_lo, exec_lo, s14
	s_and_saveexec_b32 s7, vcc_lo
	s_cbranch_execz .LBB54_34
	s_branch .LBB54_52
.LBB54_44:                              ;   in Loop: Header=BB54_35 Depth=1
	ds_read_b32 v1, v2 offset:4096
	s_waitcnt lgkmcnt(0)
	v_add_nc_u32_e32 v7, v1, v7
	s_or_b32 exec_lo, exec_lo, s14
	s_and_saveexec_b32 s14, s1
	s_cbranch_execz .LBB54_37
.LBB54_45:                              ;   in Loop: Header=BB54_35 Depth=1
	ds_read_b32 v1, v2 offset:4104
	s_waitcnt lgkmcnt(0)
	v_add_nc_u32_e32 v7, v7, v1
	s_or_b32 exec_lo, exec_lo, s14
	s_and_saveexec_b32 s14, s2
	s_cbranch_execz .LBB54_38
.LBB54_46:                              ;   in Loop: Header=BB54_35 Depth=1
	ds_read_b32 v1, v2 offset:4112
	s_waitcnt lgkmcnt(0)
	v_add_nc_u32_e32 v7, v7, v1
	s_or_b32 exec_lo, exec_lo, s14
	s_and_saveexec_b32 s14, s3
	s_cbranch_execz .LBB54_39
.LBB54_47:                              ;   in Loop: Header=BB54_35 Depth=1
	ds_read_b32 v1, v2 offset:4120
	s_waitcnt lgkmcnt(0)
	v_add_nc_u32_e32 v7, v7, v1
	s_or_b32 exec_lo, exec_lo, s14
	s_and_saveexec_b32 s14, s4
	s_cbranch_execz .LBB54_40
.LBB54_48:                              ;   in Loop: Header=BB54_35 Depth=1
	ds_read_b32 v1, v2 offset:4128
	s_waitcnt lgkmcnt(0)
	v_add_nc_u32_e32 v7, v7, v1
	s_or_b32 exec_lo, exec_lo, s14
	s_and_saveexec_b32 s14, s5
	s_cbranch_execz .LBB54_41
.LBB54_49:                              ;   in Loop: Header=BB54_35 Depth=1
	ds_read_b32 v1, v2 offset:4136
	s_waitcnt lgkmcnt(0)
	v_add_nc_u32_e32 v7, v7, v1
	s_or_b32 exec_lo, exec_lo, s14
	s_and_saveexec_b32 s14, s6
	s_cbranch_execz .LBB54_42
.LBB54_50:                              ;   in Loop: Header=BB54_35 Depth=1
	ds_read_b32 v1, v2 offset:4144
	s_waitcnt lgkmcnt(0)
	v_add_nc_u32_e32 v7, v7, v1
	s_or_b32 exec_lo, exec_lo, s14
	v_ashrrev_i32_e32 v8, 31, v7
	s_and_saveexec_b32 s14, s7
	s_cbranch_execz .LBB54_43
.LBB54_51:                              ;   in Loop: Header=BB54_35 Depth=1
	v_lshlrev_b32_e32 v1, 3, v3
	v_lshlrev_b32_e32 v13, 3, v7
	v_add_nc_u32_e32 v1, 0, v1
	v_add3_u32 v1, v1, v13, -8
	ds_write_b64 v1, v[5:6]
	s_or_b32 exec_lo, exec_lo, s14
	s_and_saveexec_b32 s7, vcc_lo
	s_cbranch_execz .LBB54_34
.LBB54_52:                              ;   in Loop: Header=BB54_35 Depth=1
	ds_write_b64 v2, v[7:8] offset:4152
	s_branch .LBB54_34
.LBB54_53:
	s_or_b32 exec_lo, exec_lo, s12
	s_lshl_b64 s[0:1], s[10:11], 3
	v_mov_b32_e32 v1, 0
	s_add_u32 s0, s30, s0
	s_addc_u32 s1, s31, s1
	s_mov_b32 s6, exec_lo
	s_load_dwordx4 s[0:3], s[0:1], 0x0
	s_waitcnt lgkmcnt(0)
	s_sub_u32 s4, s2, s0
	s_subb_u32 s5, s3, s1
	v_cmpx_gt_i64_e64 s[4:5], v[0:1]
	s_cbranch_execz .LBB54_63
; %bb.54:
	s_sub_u32 s8, s0, s26
	s_subb_u32 s9, s1, 0
	s_and_b32 s6, s4, 7
	s_sub_u32 s0, s0, s2
	s_subb_u32 s1, s1, s3
	s_mov_b32 s7, 0
	v_cmp_lt_u64_e64 s12, s[0:1], -7
	s_and_b32 s2, s4, -8
	s_cmp_lg_u64 s[6:7], 0
	s_mov_b32 s3, s5
	s_cselect_b32 s13, -1, 0
	s_mov_b32 s14, s7
	s_branch .LBB54_56
.LBB54_55:                              ;   in Loop: Header=BB54_56 Depth=1
	v_add_co_u32 v0, vcc_lo, 0x100, v0
	v_lshlrev_b64 v[4:5], 3, v[4:5]
	v_add_co_ci_u32_e64 v1, null, 0, v1, vcc_lo
	s_waitcnt lgkmcnt(0)
	v_add_co_u32 v2, vcc_lo, v2, s26
	v_add_co_ci_u32_e64 v3, null, 0, v3, vcc_lo
	v_cmp_le_i64_e32 vcc_lo, s[4:5], v[0:1]
	v_add_co_u32 v4, s0, s34, v4
	v_add_co_ci_u32_e64 v5, null, s35, v5, s0
	s_or_b32 s14, vcc_lo, s14
	global_store_dwordx2 v[4:5], v[2:3], off
	s_andn2_b32 exec_lo, exec_lo, s14
	s_cbranch_execz .LBB54_63
.LBB54_56:                              ; =>This Loop Header: Depth=1
                                        ;     Child Loop BB54_58 Depth 2
                                        ;     Child Loop BB54_62 Depth 2
	v_lshl_add_u32 v2, v0, 3, 0
	v_mov_b32_e32 v4, s8
	v_mov_b32_e32 v5, s9
	s_andn2_b32 vcc_lo, exec_lo, s12
	s_mov_b64 s[0:1], 0
	ds_read_b64 v[2:3], v2
	s_cbranch_vccnz .LBB54_60
; %bb.57:                               ;   in Loop: Header=BB54_56 Depth=1
	v_mov_b32_e32 v4, s8
	v_mov_b32_e32 v5, s9
	s_mov_b64 s[10:11], 0
	s_mov_b32 s1, 0
.LBB54_58:                              ;   Parent Loop BB54_56 Depth=1
                                        ; =>  This Inner Loop Header: Depth=2
	v_mov_b32_e32 v18, s1
	s_add_u32 s10, s10, 8
	s_addc_u32 s11, s11, 0
	s_add_i32 s1, s1, 64
	s_cmp_eq_u64 s[2:3], s[10:11]
	ds_read2_b64 v[6:9], v18 offset1:1
	ds_read2_b64 v[10:13], v18 offset0:2 offset1:3
	ds_read2_b64 v[14:17], v18 offset0:4 offset1:5
	;; [unrolled: 1-line block ×3, first 2 shown]
	s_waitcnt lgkmcnt(3)
	v_cmp_gt_i64_e32 vcc_lo, v[2:3], v[6:7]
	v_cndmask_b32_e64 v6, 0, 1, vcc_lo
	v_cmp_gt_i64_e32 vcc_lo, v[2:3], v[8:9]
	v_cndmask_b32_e64 v7, 0, 1, vcc_lo
	s_waitcnt lgkmcnt(2)
	v_cmp_gt_i64_e32 vcc_lo, v[2:3], v[10:11]
	v_cndmask_b32_e64 v8, 0, 1, vcc_lo
	v_cmp_gt_i64_e32 vcc_lo, v[2:3], v[12:13]
	v_cndmask_b32_e64 v9, 0, 1, vcc_lo
	s_waitcnt lgkmcnt(1)
	v_cmp_gt_i64_e32 vcc_lo, v[2:3], v[14:15]
	v_cndmask_b32_e64 v10, 0, 1, vcc_lo
	v_add_co_u32 v4, vcc_lo, v4, v6
	v_add_co_ci_u32_e64 v5, null, 0, v5, vcc_lo
	v_cmp_gt_i64_e32 vcc_lo, v[2:3], v[16:17]
	v_add_co_u32 v4, s0, v4, v7
	v_add_co_ci_u32_e64 v5, null, 0, v5, s0
	v_cndmask_b32_e64 v6, 0, 1, vcc_lo
	v_add_co_u32 v4, vcc_lo, v4, v8
	v_add_co_ci_u32_e64 v5, null, 0, v5, vcc_lo
	s_waitcnt lgkmcnt(0)
	v_cmp_gt_i64_e32 vcc_lo, v[2:3], v[18:19]
	v_add_co_u32 v4, s0, v4, v9
	v_add_co_ci_u32_e64 v5, null, 0, v5, s0
	v_cndmask_b32_e64 v7, 0, 1, vcc_lo
	v_add_co_u32 v4, vcc_lo, v4, v10
	v_add_co_ci_u32_e64 v5, null, 0, v5, vcc_lo
	v_cmp_gt_i64_e32 vcc_lo, v[2:3], v[20:21]
	v_add_co_u32 v4, s0, v4, v6
	v_add_co_ci_u32_e64 v5, null, 0, v5, s0
	v_cndmask_b32_e64 v6, 0, 1, vcc_lo
	v_add_co_u32 v4, vcc_lo, v4, v7
	v_add_co_ci_u32_e64 v5, null, 0, v5, vcc_lo
	v_add_co_u32 v4, vcc_lo, v4, v6
	v_add_co_ci_u32_e64 v5, null, 0, v5, vcc_lo
	s_cbranch_scc0 .LBB54_58
; %bb.59:                               ;   in Loop: Header=BB54_56 Depth=1
	s_mov_b64 s[0:1], s[2:3]
.LBB54_60:                              ;   in Loop: Header=BB54_56 Depth=1
	s_andn2_b32 vcc_lo, exec_lo, s13
	s_cbranch_vccnz .LBB54_55
; %bb.61:                               ;   in Loop: Header=BB54_56 Depth=1
	s_lshl_b32 s0, s0, 3
	s_add_i32 s10, s0, 0
	s_mov_b64 s[0:1], s[6:7]
.LBB54_62:                              ;   Parent Loop BB54_56 Depth=1
                                        ; =>  This Inner Loop Header: Depth=2
	v_mov_b32_e32 v6, s10
	s_add_i32 s10, s10, 8
	s_add_u32 s0, s0, -1
	s_addc_u32 s1, s1, -1
	s_cmp_lg_u64 s[0:1], 0
	ds_read_b64 v[6:7], v6
	s_waitcnt lgkmcnt(0)
	v_cmp_gt_i64_e32 vcc_lo, v[2:3], v[6:7]
	v_cndmask_b32_e64 v6, 0, 1, vcc_lo
	v_add_co_u32 v4, vcc_lo, v4, v6
	v_add_co_ci_u32_e64 v5, null, 0, v5, vcc_lo
	s_cbranch_scc1 .LBB54_62
	s_branch .LBB54_55
.LBB54_63:
	s_endpgm
	.section	.rodata,"a",@progbits
	.p2align	6, 0x0
	.amdhsa_kernel _ZN9rocsparseL35csrgemm_symbolic_fill_block_per_rowILj256ELj32ELj512ELj137ELj32EllEEvT5_PKS1_S3_PKT4_S3_S6_S3_S6_S3_S6_PS1_21rocsparse_index_base_S8_S8_S8_bb
		.amdhsa_group_segment_fixed_size 0
		.amdhsa_private_segment_fixed_size 0
		.amdhsa_kernarg_size 108
		.amdhsa_user_sgpr_count 6
		.amdhsa_user_sgpr_private_segment_buffer 1
		.amdhsa_user_sgpr_dispatch_ptr 0
		.amdhsa_user_sgpr_queue_ptr 0
		.amdhsa_user_sgpr_kernarg_segment_ptr 1
		.amdhsa_user_sgpr_dispatch_id 0
		.amdhsa_user_sgpr_flat_scratch_init 0
		.amdhsa_user_sgpr_private_segment_size 0
		.amdhsa_wavefront_size32 1
		.amdhsa_uses_dynamic_stack 0
		.amdhsa_system_sgpr_private_segment_wavefront_offset 0
		.amdhsa_system_sgpr_workgroup_id_x 1
		.amdhsa_system_sgpr_workgroup_id_y 0
		.amdhsa_system_sgpr_workgroup_id_z 0
		.amdhsa_system_sgpr_workgroup_info 0
		.amdhsa_system_vgpr_workitem_id 0
		.amdhsa_next_free_vgpr 22
		.amdhsa_next_free_sgpr 36
		.amdhsa_reserve_vcc 1
		.amdhsa_reserve_flat_scratch 0
		.amdhsa_float_round_mode_32 0
		.amdhsa_float_round_mode_16_64 0
		.amdhsa_float_denorm_mode_32 3
		.amdhsa_float_denorm_mode_16_64 3
		.amdhsa_dx10_clamp 1
		.amdhsa_ieee_mode 1
		.amdhsa_fp16_overflow 0
		.amdhsa_workgroup_processor_mode 1
		.amdhsa_memory_ordered 1
		.amdhsa_forward_progress 1
		.amdhsa_shared_vgpr_count 0
		.amdhsa_exception_fp_ieee_invalid_op 0
		.amdhsa_exception_fp_denorm_src 0
		.amdhsa_exception_fp_ieee_div_zero 0
		.amdhsa_exception_fp_ieee_overflow 0
		.amdhsa_exception_fp_ieee_underflow 0
		.amdhsa_exception_fp_ieee_inexact 0
		.amdhsa_exception_int_div_zero 0
	.end_amdhsa_kernel
	.section	.text._ZN9rocsparseL35csrgemm_symbolic_fill_block_per_rowILj256ELj32ELj512ELj137ELj32EllEEvT5_PKS1_S3_PKT4_S3_S6_S3_S6_S3_S6_PS1_21rocsparse_index_base_S8_S8_S8_bb,"axG",@progbits,_ZN9rocsparseL35csrgemm_symbolic_fill_block_per_rowILj256ELj32ELj512ELj137ELj32EllEEvT5_PKS1_S3_PKT4_S3_S6_S3_S6_S3_S6_PS1_21rocsparse_index_base_S8_S8_S8_bb,comdat
.Lfunc_end54:
	.size	_ZN9rocsparseL35csrgemm_symbolic_fill_block_per_rowILj256ELj32ELj512ELj137ELj32EllEEvT5_PKS1_S3_PKT4_S3_S6_S3_S6_S3_S6_PS1_21rocsparse_index_base_S8_S8_S8_bb, .Lfunc_end54-_ZN9rocsparseL35csrgemm_symbolic_fill_block_per_rowILj256ELj32ELj512ELj137ELj32EllEEvT5_PKS1_S3_PKT4_S3_S6_S3_S6_S3_S6_PS1_21rocsparse_index_base_S8_S8_S8_bb
                                        ; -- End function
	.set _ZN9rocsparseL35csrgemm_symbolic_fill_block_per_rowILj256ELj32ELj512ELj137ELj32EllEEvT5_PKS1_S3_PKT4_S3_S6_S3_S6_S3_S6_PS1_21rocsparse_index_base_S8_S8_S8_bb.num_vgpr, 22
	.set _ZN9rocsparseL35csrgemm_symbolic_fill_block_per_rowILj256ELj32ELj512ELj137ELj32EllEEvT5_PKS1_S3_PKT4_S3_S6_S3_S6_S3_S6_PS1_21rocsparse_index_base_S8_S8_S8_bb.num_agpr, 0
	.set _ZN9rocsparseL35csrgemm_symbolic_fill_block_per_rowILj256ELj32ELj512ELj137ELj32EllEEvT5_PKS1_S3_PKT4_S3_S6_S3_S6_S3_S6_PS1_21rocsparse_index_base_S8_S8_S8_bb.numbered_sgpr, 36
	.set _ZN9rocsparseL35csrgemm_symbolic_fill_block_per_rowILj256ELj32ELj512ELj137ELj32EllEEvT5_PKS1_S3_PKT4_S3_S6_S3_S6_S3_S6_PS1_21rocsparse_index_base_S8_S8_S8_bb.num_named_barrier, 0
	.set _ZN9rocsparseL35csrgemm_symbolic_fill_block_per_rowILj256ELj32ELj512ELj137ELj32EllEEvT5_PKS1_S3_PKT4_S3_S6_S3_S6_S3_S6_PS1_21rocsparse_index_base_S8_S8_S8_bb.private_seg_size, 0
	.set _ZN9rocsparseL35csrgemm_symbolic_fill_block_per_rowILj256ELj32ELj512ELj137ELj32EllEEvT5_PKS1_S3_PKT4_S3_S6_S3_S6_S3_S6_PS1_21rocsparse_index_base_S8_S8_S8_bb.uses_vcc, 1
	.set _ZN9rocsparseL35csrgemm_symbolic_fill_block_per_rowILj256ELj32ELj512ELj137ELj32EllEEvT5_PKS1_S3_PKT4_S3_S6_S3_S6_S3_S6_PS1_21rocsparse_index_base_S8_S8_S8_bb.uses_flat_scratch, 0
	.set _ZN9rocsparseL35csrgemm_symbolic_fill_block_per_rowILj256ELj32ELj512ELj137ELj32EllEEvT5_PKS1_S3_PKT4_S3_S6_S3_S6_S3_S6_PS1_21rocsparse_index_base_S8_S8_S8_bb.has_dyn_sized_stack, 0
	.set _ZN9rocsparseL35csrgemm_symbolic_fill_block_per_rowILj256ELj32ELj512ELj137ELj32EllEEvT5_PKS1_S3_PKT4_S3_S6_S3_S6_S3_S6_PS1_21rocsparse_index_base_S8_S8_S8_bb.has_recursion, 0
	.set _ZN9rocsparseL35csrgemm_symbolic_fill_block_per_rowILj256ELj32ELj512ELj137ELj32EllEEvT5_PKS1_S3_PKT4_S3_S6_S3_S6_S3_S6_PS1_21rocsparse_index_base_S8_S8_S8_bb.has_indirect_call, 0
	.section	.AMDGPU.csdata,"",@progbits
; Kernel info:
; codeLenInByte = 2640
; TotalNumSgprs: 38
; NumVgprs: 22
; ScratchSize: 0
; MemoryBound: 0
; FloatMode: 240
; IeeeMode: 1
; LDSByteSize: 0 bytes/workgroup (compile time only)
; SGPRBlocks: 0
; VGPRBlocks: 2
; NumSGPRsForWavesPerEU: 38
; NumVGPRsForWavesPerEU: 22
; Occupancy: 16
; WaveLimiterHint : 1
; COMPUTE_PGM_RSRC2:SCRATCH_EN: 0
; COMPUTE_PGM_RSRC2:USER_SGPR: 6
; COMPUTE_PGM_RSRC2:TRAP_HANDLER: 0
; COMPUTE_PGM_RSRC2:TGID_X_EN: 1
; COMPUTE_PGM_RSRC2:TGID_Y_EN: 0
; COMPUTE_PGM_RSRC2:TGID_Z_EN: 0
; COMPUTE_PGM_RSRC2:TIDIG_COMP_CNT: 0
	.section	.text._ZN9rocsparseL35csrgemm_symbolic_fill_block_per_rowILj256ELj32ELj512ELj137ELj64EllEEvT5_PKS1_S3_PKT4_S3_S6_S3_S6_S3_S6_PS1_21rocsparse_index_base_S8_S8_S8_bb,"axG",@progbits,_ZN9rocsparseL35csrgemm_symbolic_fill_block_per_rowILj256ELj32ELj512ELj137ELj64EllEEvT5_PKS1_S3_PKT4_S3_S6_S3_S6_S3_S6_PS1_21rocsparse_index_base_S8_S8_S8_bb,comdat
	.globl	_ZN9rocsparseL35csrgemm_symbolic_fill_block_per_rowILj256ELj32ELj512ELj137ELj64EllEEvT5_PKS1_S3_PKT4_S3_S6_S3_S6_S3_S6_PS1_21rocsparse_index_base_S8_S8_S8_bb ; -- Begin function _ZN9rocsparseL35csrgemm_symbolic_fill_block_per_rowILj256ELj32ELj512ELj137ELj64EllEEvT5_PKS1_S3_PKT4_S3_S6_S3_S6_S3_S6_PS1_21rocsparse_index_base_S8_S8_S8_bb
	.p2align	8
	.type	_ZN9rocsparseL35csrgemm_symbolic_fill_block_per_rowILj256ELj32ELj512ELj137ELj64EllEEvT5_PKS1_S3_PKT4_S3_S6_S3_S6_S3_S6_PS1_21rocsparse_index_base_S8_S8_S8_bb,@function
_ZN9rocsparseL35csrgemm_symbolic_fill_block_per_rowILj256ELj32ELj512ELj137ELj64EllEEvT5_PKS1_S3_PKT4_S3_S6_S3_S6_S3_S6_PS1_21rocsparse_index_base_S8_S8_S8_bb: ; @_ZN9rocsparseL35csrgemm_symbolic_fill_block_per_rowILj256ELj32ELj512ELj137ELj64EllEEvT5_PKS1_S3_PKT4_S3_S6_S3_S6_S3_S6_PS1_21rocsparse_index_base_S8_S8_S8_bb
; %bb.0:
	s_clause 0x3
	s_load_dwordx2 s[28:29], s[4:5], 0x50
	s_load_dwordx4 s[24:27], s[4:5], 0x40
	s_load_dwordx8 s[8:15], s[4:5], 0x0
	s_load_dwordx8 s[16:23], s[4:5], 0x20
	v_cmp_gt_u32_e64 s0, 0x200, v0
	v_or_b32_e32 v11, 0xffffff00, v0
	v_lshl_add_u32 v12, v0, 3, 0
	s_and_saveexec_b32 s1, s0
	s_cbranch_execz .LBB55_3
; %bb.1:
	s_waitcnt lgkmcnt(0)
	v_mov_b32_e32 v1, s8
	v_or_b32_e32 v3, 0xffffff00, v0
	v_lshl_add_u32 v4, v0, 3, 0
	v_mov_b32_e32 v2, s9
	s_mov_b32 s2, 0
.LBB55_2:                               ; =>This Inner Loop Header: Depth=1
	v_add_co_u32 v3, s3, 0x100, v3
	s_xor_b32 s3, s3, -1
	ds_write_b64 v4, v[1:2]
	v_add_nc_u32_e32 v4, 0x800, v4
	s_and_b32 s3, exec_lo, s3
	s_or_b32 s2, s3, s2
	s_andn2_b32 exec_lo, exec_lo, s2
	s_cbranch_execnz .LBB55_2
.LBB55_3:
	s_or_b32 exec_lo, exec_lo, s1
	s_load_dword s1, s[4:5], 0x68
	s_waitcnt lgkmcnt(0)
	s_barrier
	buffer_gl0_inv
	s_load_dwordx2 s[2:3], s[10:11], 0x0
	s_mov_b32 s7, 0
	s_bitcmp1_b32 s1, 0
	s_cselect_b32 s30, -1, 0
	s_waitcnt lgkmcnt(0)
	s_lshl_b64 s[2:3], s[2:3], 3
	s_add_u32 s10, s12, s2
	s_addc_u32 s11, s13, s3
	s_lshl_b64 s[2:3], s[6:7], 3
	s_add_u32 s2, s10, s2
	s_addc_u32 s3, s11, s3
	s_load_dwordx4 s[4:7], s[4:5], 0x58
	s_load_dwordx2 s[10:11], s[2:3], 0x0
	s_and_b32 vcc_lo, exec_lo, s30
	s_cbranch_vccz .LBB55_19
; %bb.4:
	s_waitcnt lgkmcnt(0)
	s_lshl_b64 s[2:3], s[10:11], 3
	v_lshrrev_b32_e32 v1, 5, v0
	s_add_u32 s2, s14, s2
	s_addc_u32 s3, s15, s3
	s_load_dwordx4 s[12:15], s[2:3], 0x0
	v_sub_co_u32 v1, s2, v1, s4
	v_sub_co_ci_u32_e64 v2, null, 0, 0, s2
	s_waitcnt lgkmcnt(0)
	v_add_co_u32 v1, vcc_lo, s12, v1
	v_add_co_ci_u32_e64 v2, null, s13, v2, vcc_lo
	s_sub_u32 s2, s14, s4
	s_subb_u32 s3, s15, 0
	s_mov_b32 s12, exec_lo
	v_cmpx_gt_i64_e64 s[2:3], v[1:2]
	s_cbranch_execz .LBB55_18
; %bb.5:
	v_and_b32_e32 v3, 31, v0
	v_sub_co_u32 v13, s13, v3, s5
	v_sub_co_ci_u32_e64 v14, null, 0, 0, s13
	s_mov_b32 s13, 0
	s_branch .LBB55_7
.LBB55_6:                               ;   in Loop: Header=BB55_7 Depth=1
	s_or_b32 exec_lo, exec_lo, s14
	v_add_co_u32 v1, vcc_lo, v1, 8
	v_add_co_ci_u32_e64 v2, null, 0, v2, vcc_lo
	v_cmp_le_i64_e32 vcc_lo, s[2:3], v[1:2]
	s_or_b32 s13, vcc_lo, s13
	s_andn2_b32 exec_lo, exec_lo, s13
	s_cbranch_execz .LBB55_18
.LBB55_7:                               ; =>This Loop Header: Depth=1
                                        ;     Child Loop BB55_10 Depth 2
                                        ;       Child Loop BB55_13 Depth 3
	v_lshlrev_b64 v[3:4], 3, v[1:2]
	s_mov_b32 s14, exec_lo
	v_add_co_u32 v3, vcc_lo, s16, v3
	v_add_co_ci_u32_e64 v4, null, s17, v4, vcc_lo
	global_load_dwordx2 v[3:4], v[3:4], off
	s_waitcnt vmcnt(0)
	v_sub_co_u32 v3, vcc_lo, v3, s4
	v_subrev_co_ci_u32_e64 v4, null, 0, v4, vcc_lo
	v_lshlrev_b64 v[3:4], 3, v[3:4]
	v_add_co_u32 v3, vcc_lo, s18, v3
	v_add_co_ci_u32_e64 v4, null, s19, v4, vcc_lo
	global_load_dwordx4 v[5:8], v[3:4], off
	s_waitcnt vmcnt(0)
	v_sub_co_u32 v3, vcc_lo, v7, s5
	v_subrev_co_ci_u32_e64 v4, null, 0, v8, vcc_lo
	v_add_co_u32 v5, vcc_lo, v5, v13
	v_add_co_ci_u32_e64 v6, null, v6, v14, vcc_lo
	v_cmpx_lt_i64_e64 v[5:6], v[3:4]
	s_cbranch_execz .LBB55_6
; %bb.8:                                ;   in Loop: Header=BB55_7 Depth=1
	s_mov_b32 s15, 0
	s_branch .LBB55_10
.LBB55_9:                               ;   in Loop: Header=BB55_10 Depth=2
	s_inst_prefetch 0x2
	s_or_b32 exec_lo, exec_lo, s30
	v_add_co_u32 v5, vcc_lo, v5, 32
	v_add_co_ci_u32_e64 v6, null, 0, v6, vcc_lo
	v_cmp_ge_i64_e32 vcc_lo, v[5:6], v[3:4]
	s_or_b32 s15, vcc_lo, s15
	s_andn2_b32 exec_lo, exec_lo, s15
	s_cbranch_execz .LBB55_6
.LBB55_10:                              ;   Parent Loop BB55_7 Depth=1
                                        ; =>  This Loop Header: Depth=2
                                        ;       Child Loop BB55_13 Depth 3
	v_lshlrev_b64 v[7:8], 3, v[5:6]
	s_mov_b32 s30, 0
                                        ; implicit-def: $sgpr31
	v_add_co_u32 v7, vcc_lo, s20, v7
	v_add_co_ci_u32_e64 v8, null, s21, v8, vcc_lo
	global_load_dwordx2 v[7:8], v[7:8], off
	s_waitcnt vmcnt(0)
	v_sub_co_u32 v7, vcc_lo, v7, s5
	v_subrev_co_ci_u32_e64 v8, null, 0, v8, vcc_lo
	v_mul_lo_u32 v9, 0x89, v7
	v_and_b32_e32 v15, 0x1ff, v9
	s_inst_prefetch 0x1
	s_branch .LBB55_13
	.p2align	6
.LBB55_11:                              ;   in Loop: Header=BB55_13 Depth=3
	s_or_b32 exec_lo, exec_lo, s34
	s_andn2_b32 s31, s31, exec_lo
	s_and_b32 s34, s35, exec_lo
	s_or_b32 s31, s31, s34
.LBB55_12:                              ;   in Loop: Header=BB55_13 Depth=3
	s_or_b32 exec_lo, exec_lo, s33
	s_xor_b32 s33, s31, -1
	s_and_b32 s33, exec_lo, s33
	s_or_b32 s30, s33, s30
	s_andn2_b32 exec_lo, exec_lo, s30
	s_cbranch_execz .LBB55_9
.LBB55_13:                              ;   Parent Loop BB55_7 Depth=1
                                        ;     Parent Loop BB55_10 Depth=2
                                        ; =>    This Inner Loop Header: Depth=3
	v_lshl_add_u32 v16, v15, 3, 0
	s_andn2_b32 s31, s31, exec_lo
	s_mov_b32 s33, exec_lo
	ds_read_b64 v[9:10], v16
	s_waitcnt lgkmcnt(0)
	v_cmpx_ne_u64_e64 v[9:10], v[7:8]
	s_cbranch_execz .LBB55_12
; %bb.14:                               ;   in Loop: Header=BB55_13 Depth=3
	s_mov_b32 s34, exec_lo
	v_cmpx_ne_u64_e64 s[8:9], v[9:10]
	s_xor_b32 s34, exec_lo, s34
; %bb.15:                               ;   in Loop: Header=BB55_13 Depth=3
	v_add_nc_u32_e32 v9, 1, v15
                                        ; implicit-def: $vgpr16
	v_and_b32_e32 v15, 0x1ff, v9
; %bb.16:                               ;   in Loop: Header=BB55_13 Depth=3
	s_or_saveexec_b32 s34, s34
	s_mov_b32 s35, -1
	s_xor_b32 exec_lo, exec_lo, s34
	s_cbranch_execz .LBB55_11
; %bb.17:                               ;   in Loop: Header=BB55_13 Depth=3
	v_mov_b32_e32 v10, s9
	v_mov_b32_e32 v9, s8
	ds_cmpst_rtn_b64 v[9:10], v16, v[9:10], v[7:8]
	s_waitcnt lgkmcnt(0)
	v_cmp_ne_u64_e32 vcc_lo, s[8:9], v[9:10]
	s_orn2_b32 s35, vcc_lo, exec_lo
	s_branch .LBB55_11
.LBB55_18:
	s_or_b32 exec_lo, exec_lo, s12
.LBB55_19:
	s_bfe_u32 s1, s1, 0x10008
	s_cmp_eq_u32 s1, 0
	s_cbranch_scc1 .LBB55_32
; %bb.20:
	s_waitcnt lgkmcnt(0)
	s_lshl_b64 s[2:3], s[10:11], 3
	v_sub_co_u32 v1, s1, v0, s7
	s_add_u32 s2, s22, s2
	s_addc_u32 s3, s23, s3
	v_sub_co_ci_u32_e64 v2, null, 0, 0, s1
	s_load_dwordx4 s[12:15], s[2:3], 0x0
	s_mov_b32 s1, 0
	s_mov_b32 s4, exec_lo
	s_waitcnt lgkmcnt(0)
	v_add_co_u32 v1, vcc_lo, s12, v1
	v_add_co_ci_u32_e64 v2, null, s13, v2, vcc_lo
	s_sub_u32 s2, s14, s7
	s_subb_u32 s3, s15, 0
	v_cmpx_gt_i64_e64 s[2:3], v[1:2]
	s_cbranch_execz .LBB55_31
; %bb.21:
	s_mov_b32 s5, s7
	s_branch .LBB55_23
.LBB55_22:                              ;   in Loop: Header=BB55_23 Depth=1
	s_inst_prefetch 0x2
	s_or_b32 exec_lo, exec_lo, s7
	v_add_co_u32 v1, vcc_lo, 0x100, v1
	v_add_co_ci_u32_e64 v2, null, 0, v2, vcc_lo
	v_cmp_le_i64_e32 vcc_lo, s[2:3], v[1:2]
	s_or_b32 s1, vcc_lo, s1
	s_andn2_b32 exec_lo, exec_lo, s1
	s_cbranch_execz .LBB55_31
.LBB55_23:                              ; =>This Loop Header: Depth=1
                                        ;     Child Loop BB55_26 Depth 2
	v_lshlrev_b64 v[3:4], 3, v[1:2]
	s_mov_b32 s7, 0
                                        ; implicit-def: $sgpr12
	v_add_co_u32 v3, vcc_lo, s24, v3
	v_add_co_ci_u32_e64 v4, null, s25, v4, vcc_lo
	global_load_dwordx2 v[3:4], v[3:4], off
	s_waitcnt vmcnt(0)
	v_sub_co_u32 v3, vcc_lo, v3, s5
	v_subrev_co_ci_u32_e64 v4, null, 0, v4, vcc_lo
	v_mul_lo_u32 v5, 0x89, v3
	v_and_b32_e32 v7, 0x1ff, v5
	s_inst_prefetch 0x1
	s_branch .LBB55_26
	.p2align	6
.LBB55_24:                              ;   in Loop: Header=BB55_26 Depth=2
	s_or_b32 exec_lo, exec_lo, s14
	s_andn2_b32 s12, s12, exec_lo
	s_and_b32 s14, s15, exec_lo
	s_or_b32 s12, s12, s14
.LBB55_25:                              ;   in Loop: Header=BB55_26 Depth=2
	s_or_b32 exec_lo, exec_lo, s13
	s_xor_b32 s13, s12, -1
	s_and_b32 s13, exec_lo, s13
	s_or_b32 s7, s13, s7
	s_andn2_b32 exec_lo, exec_lo, s7
	s_cbranch_execz .LBB55_22
.LBB55_26:                              ;   Parent Loop BB55_23 Depth=1
                                        ; =>  This Inner Loop Header: Depth=2
	v_lshl_add_u32 v8, v7, 3, 0
	s_andn2_b32 s12, s12, exec_lo
	s_mov_b32 s13, exec_lo
	ds_read_b64 v[5:6], v8
	s_waitcnt lgkmcnt(0)
	v_cmpx_ne_u64_e64 v[5:6], v[3:4]
	s_cbranch_execz .LBB55_25
; %bb.27:                               ;   in Loop: Header=BB55_26 Depth=2
	s_mov_b32 s14, exec_lo
	v_cmpx_ne_u64_e64 s[8:9], v[5:6]
	s_xor_b32 s14, exec_lo, s14
; %bb.28:                               ;   in Loop: Header=BB55_26 Depth=2
	v_add_nc_u32_e32 v5, 1, v7
                                        ; implicit-def: $vgpr8
	v_and_b32_e32 v7, 0x1ff, v5
; %bb.29:                               ;   in Loop: Header=BB55_26 Depth=2
	s_or_saveexec_b32 s14, s14
	s_mov_b32 s15, -1
	s_xor_b32 exec_lo, exec_lo, s14
	s_cbranch_execz .LBB55_24
; %bb.30:                               ;   in Loop: Header=BB55_26 Depth=2
	v_mov_b32_e32 v5, s8
	v_mov_b32_e32 v6, s9
	ds_cmpst_rtn_b64 v[5:6], v8, v[5:6], v[3:4]
	s_waitcnt lgkmcnt(0)
	v_cmp_ne_u64_e32 vcc_lo, s[8:9], v[5:6]
	s_orn2_b32 s15, vcc_lo, exec_lo
	s_branch .LBB55_24
.LBB55_31:
	s_or_b32 exec_lo, exec_lo, s4
.LBB55_32:
	s_waitcnt lgkmcnt(0)
	s_barrier
	buffer_gl0_inv
	s_and_saveexec_b32 s4, s0
	s_cbranch_execz .LBB55_45
; %bb.33:
	v_mbcnt_lo_u32_b32 v1, -1, 0
	v_lshrrev_b32_e32 v3, 3, v0
	v_mov_b32_e32 v2, 0
	v_cmp_lt_u32_e64 s0, 63, v0
	v_cmp_lt_u32_e64 s1, 0x7f, v0
	v_xor_b32_e32 v1, 31, v1
	v_and_b32_e32 v5, 24, v3
	v_mov_b32_e32 v3, 0
	v_mov_b32_e32 v4, 0
	v_cmp_lt_u32_e64 s2, 0xbf, v0
	v_lshrrev_b32_e64 v9, v1, -1
	v_add_nc_u32_e32 v10, 0, v5
	s_mov_b32 s5, 0
	v_cmp_eq_u32_e32 vcc_lo, 0xff, v0
	s_branch .LBB55_35
.LBB55_34:                              ;   in Loop: Header=BB55_35 Depth=1
	s_or_b32 exec_lo, exec_lo, s3
	s_waitcnt lgkmcnt(0)
	s_barrier
	buffer_gl0_inv
	ds_read_b64 v[5:6], v2 offset:4120
	v_add_co_u32 v11, s3, 0x100, v11
	s_xor_b32 s7, s3, -1
	v_add_nc_u32_e32 v12, 0x800, v12
	s_waitcnt lgkmcnt(0)
	v_add_co_u32 v3, s3, v5, v3
	v_add_co_ci_u32_e64 v4, null, v6, v4, s3
	s_and_b32 s3, exec_lo, s7
	s_or_b32 s5, s3, s5
	s_andn2_b32 exec_lo, exec_lo, s5
	s_cbranch_execz .LBB55_45
.LBB55_35:                              ; =>This Inner Loop Header: Depth=1
	ds_read_b64 v[5:6], v12
	s_waitcnt lgkmcnt(0)
	s_barrier
	buffer_gl0_inv
	v_cmp_gt_i64_e64 s3, s[8:9], v[5:6]
	v_and_b32_e32 v7, s3, v9
	s_bcnt1_i32_b32 s7, s3
	v_mov_b32_e32 v1, s7
	v_bcnt_u32_b32 v7, v7, 0
	ds_write_b64 v10, v[1:2] offset:4096
	s_waitcnt lgkmcnt(0)
	s_barrier
	buffer_gl0_inv
	s_and_saveexec_b32 s7, s0
	s_cbranch_execnz .LBB55_40
; %bb.36:                               ;   in Loop: Header=BB55_35 Depth=1
	s_or_b32 exec_lo, exec_lo, s7
	s_and_saveexec_b32 s7, s1
	s_cbranch_execnz .LBB55_41
.LBB55_37:                              ;   in Loop: Header=BB55_35 Depth=1
	s_or_b32 exec_lo, exec_lo, s7
	s_and_saveexec_b32 s7, s2
	s_cbranch_execnz .LBB55_42
.LBB55_38:                              ;   in Loop: Header=BB55_35 Depth=1
	s_or_b32 exec_lo, exec_lo, s7
	v_ashrrev_i32_e32 v8, 31, v7
	s_and_saveexec_b32 s7, s3
	s_cbranch_execnz .LBB55_43
.LBB55_39:                              ;   in Loop: Header=BB55_35 Depth=1
	s_or_b32 exec_lo, exec_lo, s7
	s_and_saveexec_b32 s3, vcc_lo
	s_cbranch_execz .LBB55_34
	s_branch .LBB55_44
.LBB55_40:                              ;   in Loop: Header=BB55_35 Depth=1
	ds_read_b32 v1, v2 offset:4096
	s_waitcnt lgkmcnt(0)
	v_add_nc_u32_e32 v7, v1, v7
	s_or_b32 exec_lo, exec_lo, s7
	s_and_saveexec_b32 s7, s1
	s_cbranch_execz .LBB55_37
.LBB55_41:                              ;   in Loop: Header=BB55_35 Depth=1
	ds_read_b32 v1, v2 offset:4104
	s_waitcnt lgkmcnt(0)
	v_add_nc_u32_e32 v7, v7, v1
	s_or_b32 exec_lo, exec_lo, s7
	s_and_saveexec_b32 s7, s2
	s_cbranch_execz .LBB55_38
.LBB55_42:                              ;   in Loop: Header=BB55_35 Depth=1
	ds_read_b32 v1, v2 offset:4112
	s_waitcnt lgkmcnt(0)
	v_add_nc_u32_e32 v7, v7, v1
	s_or_b32 exec_lo, exec_lo, s7
	v_ashrrev_i32_e32 v8, 31, v7
	s_and_saveexec_b32 s7, s3
	s_cbranch_execz .LBB55_39
.LBB55_43:                              ;   in Loop: Header=BB55_35 Depth=1
	v_lshlrev_b32_e32 v1, 3, v3
	v_lshlrev_b32_e32 v13, 3, v7
	v_add_nc_u32_e32 v1, 0, v1
	v_add3_u32 v1, v1, v13, -8
	ds_write_b64 v1, v[5:6]
	s_or_b32 exec_lo, exec_lo, s7
	s_and_saveexec_b32 s3, vcc_lo
	s_cbranch_execz .LBB55_34
.LBB55_44:                              ;   in Loop: Header=BB55_35 Depth=1
	ds_write_b64 v2, v[7:8] offset:4120
	s_branch .LBB55_34
.LBB55_45:
	s_or_b32 exec_lo, exec_lo, s4
	s_lshl_b64 s[0:1], s[10:11], 3
	v_mov_b32_e32 v1, 0
	s_add_u32 s0, s26, s0
	s_addc_u32 s1, s27, s1
	s_mov_b32 s7, exec_lo
	s_load_dwordx4 s[0:3], s[0:1], 0x0
	s_waitcnt lgkmcnt(0)
	s_sub_u32 s4, s2, s0
	s_subb_u32 s5, s3, s1
	v_cmpx_gt_i64_e64 s[4:5], v[0:1]
	s_cbranch_execz .LBB55_55
; %bb.46:
	s_sub_u32 s10, s0, s6
	s_subb_u32 s11, s1, 0
	s_and_b32 s8, s4, 7
	s_sub_u32 s0, s0, s2
	s_subb_u32 s1, s1, s3
	s_mov_b32 s9, 0
	v_cmp_lt_u64_e64 s7, s[0:1], -7
	s_and_b32 s2, s4, -8
	s_cmp_lg_u64 s[8:9], 0
	s_mov_b32 s3, s5
	s_cselect_b32 s14, -1, 0
	s_mov_b32 s15, s9
	s_branch .LBB55_48
.LBB55_47:                              ;   in Loop: Header=BB55_48 Depth=1
	v_add_co_u32 v0, vcc_lo, 0x100, v0
	v_lshlrev_b64 v[4:5], 3, v[4:5]
	v_add_co_ci_u32_e64 v1, null, 0, v1, vcc_lo
	s_waitcnt lgkmcnt(0)
	v_add_co_u32 v2, vcc_lo, v2, s6
	v_add_co_ci_u32_e64 v3, null, 0, v3, vcc_lo
	v_cmp_le_i64_e32 vcc_lo, s[4:5], v[0:1]
	v_add_co_u32 v4, s0, s28, v4
	v_add_co_ci_u32_e64 v5, null, s29, v5, s0
	s_or_b32 s15, vcc_lo, s15
	global_store_dwordx2 v[4:5], v[2:3], off
	s_andn2_b32 exec_lo, exec_lo, s15
	s_cbranch_execz .LBB55_55
.LBB55_48:                              ; =>This Loop Header: Depth=1
                                        ;     Child Loop BB55_50 Depth 2
                                        ;     Child Loop BB55_54 Depth 2
	v_lshl_add_u32 v2, v0, 3, 0
	v_mov_b32_e32 v4, s10
	v_mov_b32_e32 v5, s11
	s_andn2_b32 vcc_lo, exec_lo, s7
	s_mov_b64 s[0:1], 0
	ds_read_b64 v[2:3], v2
	s_cbranch_vccnz .LBB55_52
; %bb.49:                               ;   in Loop: Header=BB55_48 Depth=1
	v_mov_b32_e32 v4, s10
	v_mov_b32_e32 v5, s11
	s_mov_b64 s[12:13], 0
	s_mov_b32 s1, 0
.LBB55_50:                              ;   Parent Loop BB55_48 Depth=1
                                        ; =>  This Inner Loop Header: Depth=2
	v_mov_b32_e32 v18, s1
	s_add_u32 s12, s12, 8
	s_addc_u32 s13, s13, 0
	s_add_i32 s1, s1, 64
	s_cmp_eq_u64 s[2:3], s[12:13]
	ds_read2_b64 v[6:9], v18 offset1:1
	ds_read2_b64 v[10:13], v18 offset0:2 offset1:3
	ds_read2_b64 v[14:17], v18 offset0:4 offset1:5
	;; [unrolled: 1-line block ×3, first 2 shown]
	s_waitcnt lgkmcnt(3)
	v_cmp_gt_i64_e32 vcc_lo, v[2:3], v[6:7]
	v_cndmask_b32_e64 v6, 0, 1, vcc_lo
	v_cmp_gt_i64_e32 vcc_lo, v[2:3], v[8:9]
	v_cndmask_b32_e64 v7, 0, 1, vcc_lo
	s_waitcnt lgkmcnt(2)
	v_cmp_gt_i64_e32 vcc_lo, v[2:3], v[10:11]
	v_cndmask_b32_e64 v8, 0, 1, vcc_lo
	v_cmp_gt_i64_e32 vcc_lo, v[2:3], v[12:13]
	v_cndmask_b32_e64 v9, 0, 1, vcc_lo
	s_waitcnt lgkmcnt(1)
	v_cmp_gt_i64_e32 vcc_lo, v[2:3], v[14:15]
	v_cndmask_b32_e64 v10, 0, 1, vcc_lo
	v_add_co_u32 v4, vcc_lo, v4, v6
	v_add_co_ci_u32_e64 v5, null, 0, v5, vcc_lo
	v_cmp_gt_i64_e32 vcc_lo, v[2:3], v[16:17]
	v_add_co_u32 v4, s0, v4, v7
	v_add_co_ci_u32_e64 v5, null, 0, v5, s0
	v_cndmask_b32_e64 v6, 0, 1, vcc_lo
	v_add_co_u32 v4, vcc_lo, v4, v8
	v_add_co_ci_u32_e64 v5, null, 0, v5, vcc_lo
	s_waitcnt lgkmcnt(0)
	v_cmp_gt_i64_e32 vcc_lo, v[2:3], v[18:19]
	v_add_co_u32 v4, s0, v4, v9
	v_add_co_ci_u32_e64 v5, null, 0, v5, s0
	v_cndmask_b32_e64 v7, 0, 1, vcc_lo
	v_add_co_u32 v4, vcc_lo, v4, v10
	v_add_co_ci_u32_e64 v5, null, 0, v5, vcc_lo
	v_cmp_gt_i64_e32 vcc_lo, v[2:3], v[20:21]
	v_add_co_u32 v4, s0, v4, v6
	v_add_co_ci_u32_e64 v5, null, 0, v5, s0
	v_cndmask_b32_e64 v6, 0, 1, vcc_lo
	v_add_co_u32 v4, vcc_lo, v4, v7
	v_add_co_ci_u32_e64 v5, null, 0, v5, vcc_lo
	v_add_co_u32 v4, vcc_lo, v4, v6
	v_add_co_ci_u32_e64 v5, null, 0, v5, vcc_lo
	s_cbranch_scc0 .LBB55_50
; %bb.51:                               ;   in Loop: Header=BB55_48 Depth=1
	s_mov_b64 s[0:1], s[2:3]
.LBB55_52:                              ;   in Loop: Header=BB55_48 Depth=1
	s_andn2_b32 vcc_lo, exec_lo, s14
	s_cbranch_vccnz .LBB55_47
; %bb.53:                               ;   in Loop: Header=BB55_48 Depth=1
	s_lshl_b32 s0, s0, 3
	s_add_i32 s12, s0, 0
	s_mov_b64 s[0:1], s[8:9]
.LBB55_54:                              ;   Parent Loop BB55_48 Depth=1
                                        ; =>  This Inner Loop Header: Depth=2
	v_mov_b32_e32 v6, s12
	s_add_i32 s12, s12, 8
	s_add_u32 s0, s0, -1
	s_addc_u32 s1, s1, -1
	s_cmp_lg_u64 s[0:1], 0
	ds_read_b64 v[6:7], v6
	s_waitcnt lgkmcnt(0)
	v_cmp_gt_i64_e32 vcc_lo, v[2:3], v[6:7]
	v_cndmask_b32_e64 v6, 0, 1, vcc_lo
	v_add_co_u32 v4, vcc_lo, v4, v6
	v_add_co_ci_u32_e64 v5, null, 0, v5, vcc_lo
	s_cbranch_scc1 .LBB55_54
	s_branch .LBB55_47
.LBB55_55:
	s_endpgm
	.section	.rodata,"a",@progbits
	.p2align	6, 0x0
	.amdhsa_kernel _ZN9rocsparseL35csrgemm_symbolic_fill_block_per_rowILj256ELj32ELj512ELj137ELj64EllEEvT5_PKS1_S3_PKT4_S3_S6_S3_S6_S3_S6_PS1_21rocsparse_index_base_S8_S8_S8_bb
		.amdhsa_group_segment_fixed_size 0
		.amdhsa_private_segment_fixed_size 0
		.amdhsa_kernarg_size 108
		.amdhsa_user_sgpr_count 6
		.amdhsa_user_sgpr_private_segment_buffer 1
		.amdhsa_user_sgpr_dispatch_ptr 0
		.amdhsa_user_sgpr_queue_ptr 0
		.amdhsa_user_sgpr_kernarg_segment_ptr 1
		.amdhsa_user_sgpr_dispatch_id 0
		.amdhsa_user_sgpr_flat_scratch_init 0
		.amdhsa_user_sgpr_private_segment_size 0
		.amdhsa_wavefront_size32 1
		.amdhsa_uses_dynamic_stack 0
		.amdhsa_system_sgpr_private_segment_wavefront_offset 0
		.amdhsa_system_sgpr_workgroup_id_x 1
		.amdhsa_system_sgpr_workgroup_id_y 0
		.amdhsa_system_sgpr_workgroup_id_z 0
		.amdhsa_system_sgpr_workgroup_info 0
		.amdhsa_system_vgpr_workitem_id 0
		.amdhsa_next_free_vgpr 22
		.amdhsa_next_free_sgpr 36
		.amdhsa_reserve_vcc 1
		.amdhsa_reserve_flat_scratch 0
		.amdhsa_float_round_mode_32 0
		.amdhsa_float_round_mode_16_64 0
		.amdhsa_float_denorm_mode_32 3
		.amdhsa_float_denorm_mode_16_64 3
		.amdhsa_dx10_clamp 1
		.amdhsa_ieee_mode 1
		.amdhsa_fp16_overflow 0
		.amdhsa_workgroup_processor_mode 1
		.amdhsa_memory_ordered 1
		.amdhsa_forward_progress 1
		.amdhsa_shared_vgpr_count 0
		.amdhsa_exception_fp_ieee_invalid_op 0
		.amdhsa_exception_fp_denorm_src 0
		.amdhsa_exception_fp_ieee_div_zero 0
		.amdhsa_exception_fp_ieee_overflow 0
		.amdhsa_exception_fp_ieee_underflow 0
		.amdhsa_exception_fp_ieee_inexact 0
		.amdhsa_exception_int_div_zero 0
	.end_amdhsa_kernel
	.section	.text._ZN9rocsparseL35csrgemm_symbolic_fill_block_per_rowILj256ELj32ELj512ELj137ELj64EllEEvT5_PKS1_S3_PKT4_S3_S6_S3_S6_S3_S6_PS1_21rocsparse_index_base_S8_S8_S8_bb,"axG",@progbits,_ZN9rocsparseL35csrgemm_symbolic_fill_block_per_rowILj256ELj32ELj512ELj137ELj64EllEEvT5_PKS1_S3_PKT4_S3_S6_S3_S6_S3_S6_PS1_21rocsparse_index_base_S8_S8_S8_bb,comdat
.Lfunc_end55:
	.size	_ZN9rocsparseL35csrgemm_symbolic_fill_block_per_rowILj256ELj32ELj512ELj137ELj64EllEEvT5_PKS1_S3_PKT4_S3_S6_S3_S6_S3_S6_PS1_21rocsparse_index_base_S8_S8_S8_bb, .Lfunc_end55-_ZN9rocsparseL35csrgemm_symbolic_fill_block_per_rowILj256ELj32ELj512ELj137ELj64EllEEvT5_PKS1_S3_PKT4_S3_S6_S3_S6_S3_S6_PS1_21rocsparse_index_base_S8_S8_S8_bb
                                        ; -- End function
	.set _ZN9rocsparseL35csrgemm_symbolic_fill_block_per_rowILj256ELj32ELj512ELj137ELj64EllEEvT5_PKS1_S3_PKT4_S3_S6_S3_S6_S3_S6_PS1_21rocsparse_index_base_S8_S8_S8_bb.num_vgpr, 22
	.set _ZN9rocsparseL35csrgemm_symbolic_fill_block_per_rowILj256ELj32ELj512ELj137ELj64EllEEvT5_PKS1_S3_PKT4_S3_S6_S3_S6_S3_S6_PS1_21rocsparse_index_base_S8_S8_S8_bb.num_agpr, 0
	.set _ZN9rocsparseL35csrgemm_symbolic_fill_block_per_rowILj256ELj32ELj512ELj137ELj64EllEEvT5_PKS1_S3_PKT4_S3_S6_S3_S6_S3_S6_PS1_21rocsparse_index_base_S8_S8_S8_bb.numbered_sgpr, 36
	.set _ZN9rocsparseL35csrgemm_symbolic_fill_block_per_rowILj256ELj32ELj512ELj137ELj64EllEEvT5_PKS1_S3_PKT4_S3_S6_S3_S6_S3_S6_PS1_21rocsparse_index_base_S8_S8_S8_bb.num_named_barrier, 0
	.set _ZN9rocsparseL35csrgemm_symbolic_fill_block_per_rowILj256ELj32ELj512ELj137ELj64EllEEvT5_PKS1_S3_PKT4_S3_S6_S3_S6_S3_S6_PS1_21rocsparse_index_base_S8_S8_S8_bb.private_seg_size, 0
	.set _ZN9rocsparseL35csrgemm_symbolic_fill_block_per_rowILj256ELj32ELj512ELj137ELj64EllEEvT5_PKS1_S3_PKT4_S3_S6_S3_S6_S3_S6_PS1_21rocsparse_index_base_S8_S8_S8_bb.uses_vcc, 1
	.set _ZN9rocsparseL35csrgemm_symbolic_fill_block_per_rowILj256ELj32ELj512ELj137ELj64EllEEvT5_PKS1_S3_PKT4_S3_S6_S3_S6_S3_S6_PS1_21rocsparse_index_base_S8_S8_S8_bb.uses_flat_scratch, 0
	.set _ZN9rocsparseL35csrgemm_symbolic_fill_block_per_rowILj256ELj32ELj512ELj137ELj64EllEEvT5_PKS1_S3_PKT4_S3_S6_S3_S6_S3_S6_PS1_21rocsparse_index_base_S8_S8_S8_bb.has_dyn_sized_stack, 0
	.set _ZN9rocsparseL35csrgemm_symbolic_fill_block_per_rowILj256ELj32ELj512ELj137ELj64EllEEvT5_PKS1_S3_PKT4_S3_S6_S3_S6_S3_S6_PS1_21rocsparse_index_base_S8_S8_S8_bb.has_recursion, 0
	.set _ZN9rocsparseL35csrgemm_symbolic_fill_block_per_rowILj256ELj32ELj512ELj137ELj64EllEEvT5_PKS1_S3_PKT4_S3_S6_S3_S6_S3_S6_PS1_21rocsparse_index_base_S8_S8_S8_bb.has_indirect_call, 0
	.section	.AMDGPU.csdata,"",@progbits
; Kernel info:
; codeLenInByte = 2440
; TotalNumSgprs: 38
; NumVgprs: 22
; ScratchSize: 0
; MemoryBound: 0
; FloatMode: 240
; IeeeMode: 1
; LDSByteSize: 0 bytes/workgroup (compile time only)
; SGPRBlocks: 0
; VGPRBlocks: 2
; NumSGPRsForWavesPerEU: 38
; NumVGPRsForWavesPerEU: 22
; Occupancy: 16
; WaveLimiterHint : 1
; COMPUTE_PGM_RSRC2:SCRATCH_EN: 0
; COMPUTE_PGM_RSRC2:USER_SGPR: 6
; COMPUTE_PGM_RSRC2:TRAP_HANDLER: 0
; COMPUTE_PGM_RSRC2:TGID_X_EN: 1
; COMPUTE_PGM_RSRC2:TGID_Y_EN: 0
; COMPUTE_PGM_RSRC2:TGID_Z_EN: 0
; COMPUTE_PGM_RSRC2:TIDIG_COMP_CNT: 0
	.section	.text._ZN9rocsparseL35csrgemm_symbolic_fill_block_per_rowILj512ELj32ELj1024ELj137ELj32EllEEvT5_PKS1_S3_PKT4_S3_S6_S3_S6_S3_S6_PS1_21rocsparse_index_base_S8_S8_S8_bb,"axG",@progbits,_ZN9rocsparseL35csrgemm_symbolic_fill_block_per_rowILj512ELj32ELj1024ELj137ELj32EllEEvT5_PKS1_S3_PKT4_S3_S6_S3_S6_S3_S6_PS1_21rocsparse_index_base_S8_S8_S8_bb,comdat
	.globl	_ZN9rocsparseL35csrgemm_symbolic_fill_block_per_rowILj512ELj32ELj1024ELj137ELj32EllEEvT5_PKS1_S3_PKT4_S3_S6_S3_S6_S3_S6_PS1_21rocsparse_index_base_S8_S8_S8_bb ; -- Begin function _ZN9rocsparseL35csrgemm_symbolic_fill_block_per_rowILj512ELj32ELj1024ELj137ELj32EllEEvT5_PKS1_S3_PKT4_S3_S6_S3_S6_S3_S6_PS1_21rocsparse_index_base_S8_S8_S8_bb
	.p2align	8
	.type	_ZN9rocsparseL35csrgemm_symbolic_fill_block_per_rowILj512ELj32ELj1024ELj137ELj32EllEEvT5_PKS1_S3_PKT4_S3_S6_S3_S6_S3_S6_PS1_21rocsparse_index_base_S8_S8_S8_bb,@function
_ZN9rocsparseL35csrgemm_symbolic_fill_block_per_rowILj512ELj32ELj1024ELj137ELj32EllEEvT5_PKS1_S3_PKT4_S3_S6_S3_S6_S3_S6_PS1_21rocsparse_index_base_S8_S8_S8_bb: ; @_ZN9rocsparseL35csrgemm_symbolic_fill_block_per_rowILj512ELj32ELj1024ELj137ELj32EllEEvT5_PKS1_S3_PKT4_S3_S6_S3_S6_S3_S6_PS1_21rocsparse_index_base_S8_S8_S8_bb
; %bb.0:
	s_clause 0x3
	s_load_dwordx8 s[16:23], s[4:5], 0x0
	s_load_dwordx2 s[34:35], s[4:5], 0x50
	s_load_dwordx4 s[28:31], s[4:5], 0x40
	s_load_dwordx8 s[8:15], s[4:5], 0x20
	v_lshl_add_u32 v11, v0, 3, 0
	v_or_b32_e32 v12, 0xfffffe00, v0
	s_mov_b32 s0, 0
	v_mov_b32_e32 v3, v11
	v_mov_b32_e32 v4, v12
	s_waitcnt lgkmcnt(0)
	v_mov_b32_e32 v1, s16
	v_mov_b32_e32 v2, s17
.LBB56_1:                               ; =>This Inner Loop Header: Depth=1
	v_add_co_u32 v4, s1, 0x200, v4
	s_xor_b32 s1, s1, -1
	ds_write_b64 v3, v[1:2]
	v_add_nc_u32_e32 v3, 0x1000, v3
	s_and_b32 s1, exec_lo, s1
	s_or_b32 s0, s1, s0
	s_andn2_b32 exec_lo, exec_lo, s0
	s_cbranch_execnz .LBB56_1
; %bb.2:
	s_or_b32 exec_lo, exec_lo, s0
	s_load_dword s2, s[4:5], 0x68
	s_waitcnt lgkmcnt(0)
	s_barrier
	buffer_gl0_inv
	s_load_dwordx2 s[0:1], s[18:19], 0x0
	s_mov_b32 s7, 0
	v_lshrrev_b32_e32 v13, 5, v0
	s_bitcmp1_b32 s2, 0
	s_cselect_b32 s3, -1, 0
	s_waitcnt lgkmcnt(0)
	s_lshl_b64 s[0:1], s[0:1], 3
	s_add_u32 s18, s20, s0
	s_addc_u32 s19, s21, s1
	s_lshl_b64 s[0:1], s[6:7], 3
	s_add_u32 s0, s18, s0
	s_addc_u32 s1, s19, s1
	s_load_dwordx4 s[24:27], s[4:5], 0x58
	s_load_dwordx2 s[18:19], s[0:1], 0x0
	s_and_b32 vcc_lo, exec_lo, s3
	s_cbranch_vccz .LBB56_18
; %bb.3:
	s_waitcnt lgkmcnt(0)
	s_lshl_b64 s[0:1], s[18:19], 3
	s_mov_b32 s3, exec_lo
	s_add_u32 s0, s22, s0
	s_addc_u32 s1, s23, s1
	s_load_dwordx4 s[4:7], s[0:1], 0x0
	v_sub_co_u32 v1, s0, v13, s24
	v_sub_co_ci_u32_e64 v2, null, 0, 0, s0
	s_waitcnt lgkmcnt(0)
	v_add_co_u32 v1, vcc_lo, s4, v1
	v_add_co_ci_u32_e64 v2, null, s5, v2, vcc_lo
	s_sub_u32 s0, s6, s24
	s_subb_u32 s1, s7, 0
	v_cmpx_gt_i64_e64 s[0:1], v[1:2]
	s_cbranch_execz .LBB56_17
; %bb.4:
	v_and_b32_e32 v3, 31, v0
	s_mov_b32 s5, s25
	v_sub_co_u32 v14, s4, v3, s25
	v_sub_co_ci_u32_e64 v15, null, 0, 0, s4
	s_mov_b32 s4, 0
	s_branch .LBB56_6
.LBB56_5:                               ;   in Loop: Header=BB56_6 Depth=1
	s_or_b32 exec_lo, exec_lo, s6
	v_add_co_u32 v1, vcc_lo, v1, 16
	v_add_co_ci_u32_e64 v2, null, 0, v2, vcc_lo
	v_cmp_le_i64_e32 vcc_lo, s[0:1], v[1:2]
	s_or_b32 s4, vcc_lo, s4
	s_andn2_b32 exec_lo, exec_lo, s4
	s_cbranch_execz .LBB56_17
.LBB56_6:                               ; =>This Loop Header: Depth=1
                                        ;     Child Loop BB56_9 Depth 2
                                        ;       Child Loop BB56_12 Depth 3
	v_lshlrev_b64 v[3:4], 3, v[1:2]
	s_mov_b32 s6, exec_lo
	v_add_co_u32 v3, vcc_lo, s8, v3
	v_add_co_ci_u32_e64 v4, null, s9, v4, vcc_lo
	global_load_dwordx2 v[3:4], v[3:4], off
	s_waitcnt vmcnt(0)
	v_sub_co_u32 v3, vcc_lo, v3, s24
	v_subrev_co_ci_u32_e64 v4, null, 0, v4, vcc_lo
	v_lshlrev_b64 v[3:4], 3, v[3:4]
	v_add_co_u32 v3, vcc_lo, s10, v3
	v_add_co_ci_u32_e64 v4, null, s11, v4, vcc_lo
	global_load_dwordx4 v[5:8], v[3:4], off
	s_waitcnt vmcnt(0)
	v_sub_co_u32 v3, vcc_lo, v7, s5
	v_subrev_co_ci_u32_e64 v4, null, 0, v8, vcc_lo
	v_add_co_u32 v5, vcc_lo, v5, v14
	v_add_co_ci_u32_e64 v6, null, v6, v15, vcc_lo
	v_cmpx_lt_i64_e64 v[5:6], v[3:4]
	s_cbranch_execz .LBB56_5
; %bb.7:                                ;   in Loop: Header=BB56_6 Depth=1
	s_mov_b32 s7, 0
	s_branch .LBB56_9
.LBB56_8:                               ;   in Loop: Header=BB56_9 Depth=2
	s_inst_prefetch 0x2
	s_or_b32 exec_lo, exec_lo, s20
	v_add_co_u32 v5, vcc_lo, v5, 32
	v_add_co_ci_u32_e64 v6, null, 0, v6, vcc_lo
	v_cmp_ge_i64_e32 vcc_lo, v[5:6], v[3:4]
	s_or_b32 s7, vcc_lo, s7
	s_andn2_b32 exec_lo, exec_lo, s7
	s_cbranch_execz .LBB56_5
.LBB56_9:                               ;   Parent Loop BB56_6 Depth=1
                                        ; =>  This Loop Header: Depth=2
                                        ;       Child Loop BB56_12 Depth 3
	v_lshlrev_b64 v[7:8], 3, v[5:6]
	s_mov_b32 s20, 0
                                        ; implicit-def: $sgpr21
	v_add_co_u32 v7, vcc_lo, s12, v7
	v_add_co_ci_u32_e64 v8, null, s13, v8, vcc_lo
	global_load_dwordx2 v[7:8], v[7:8], off
	s_waitcnt vmcnt(0)
	v_sub_co_u32 v7, vcc_lo, v7, s5
	v_subrev_co_ci_u32_e64 v8, null, 0, v8, vcc_lo
	v_mul_lo_u32 v9, 0x89, v7
	v_and_b32_e32 v16, 0x3ff, v9
	s_inst_prefetch 0x1
	s_branch .LBB56_12
	.p2align	6
.LBB56_10:                              ;   in Loop: Header=BB56_12 Depth=3
	s_or_b32 exec_lo, exec_lo, s23
	s_andn2_b32 s21, s21, exec_lo
	s_and_b32 s23, s25, exec_lo
	s_or_b32 s21, s21, s23
.LBB56_11:                              ;   in Loop: Header=BB56_12 Depth=3
	s_or_b32 exec_lo, exec_lo, s22
	s_xor_b32 s22, s21, -1
	s_and_b32 s22, exec_lo, s22
	s_or_b32 s20, s22, s20
	s_andn2_b32 exec_lo, exec_lo, s20
	s_cbranch_execz .LBB56_8
.LBB56_12:                              ;   Parent Loop BB56_6 Depth=1
                                        ;     Parent Loop BB56_9 Depth=2
                                        ; =>    This Inner Loop Header: Depth=3
	v_lshl_add_u32 v17, v16, 3, 0
	s_andn2_b32 s21, s21, exec_lo
	s_mov_b32 s22, exec_lo
	ds_read_b64 v[9:10], v17
	s_waitcnt lgkmcnt(0)
	v_cmpx_ne_u64_e64 v[9:10], v[7:8]
	s_cbranch_execz .LBB56_11
; %bb.13:                               ;   in Loop: Header=BB56_12 Depth=3
	s_mov_b32 s23, exec_lo
	v_cmpx_ne_u64_e64 s[16:17], v[9:10]
	s_xor_b32 s23, exec_lo, s23
; %bb.14:                               ;   in Loop: Header=BB56_12 Depth=3
	v_add_nc_u32_e32 v9, 1, v16
                                        ; implicit-def: $vgpr17
	v_and_b32_e32 v16, 0x3ff, v9
; %bb.15:                               ;   in Loop: Header=BB56_12 Depth=3
	s_or_saveexec_b32 s23, s23
	s_mov_b32 s25, -1
	s_xor_b32 exec_lo, exec_lo, s23
	s_cbranch_execz .LBB56_10
; %bb.16:                               ;   in Loop: Header=BB56_12 Depth=3
	v_mov_b32_e32 v9, s16
	v_mov_b32_e32 v10, s17
	ds_cmpst_rtn_b64 v[9:10], v17, v[9:10], v[7:8]
	s_waitcnt lgkmcnt(0)
	v_cmp_ne_u64_e32 vcc_lo, s[16:17], v[9:10]
	s_orn2_b32 s25, vcc_lo, exec_lo
	s_branch .LBB56_10
.LBB56_17:
	s_or_b32 exec_lo, exec_lo, s3
.LBB56_18:
	s_bfe_u32 s0, s2, 0x10008
	s_cmp_eq_u32 s0, 0
	s_cbranch_scc1 .LBB56_31
; %bb.19:
	s_waitcnt lgkmcnt(0)
	s_lshl_b64 s[0:1], s[18:19], 3
	v_sub_co_u32 v1, s4, v0, s27
	s_add_u32 s0, s14, s0
	s_addc_u32 s1, s15, s1
	v_sub_co_ci_u32_e64 v2, null, 0, 0, s4
	s_load_dwordx4 s[0:3], s[0:1], 0x0
	s_waitcnt lgkmcnt(0)
	v_add_co_u32 v1, vcc_lo, s0, v1
	v_add_co_ci_u32_e64 v2, null, s1, v2, vcc_lo
	s_sub_u32 s0, s2, s27
	s_subb_u32 s1, s3, 0
	s_mov_b32 s2, 0
	s_mov_b32 s3, exec_lo
	v_cmpx_gt_i64_e64 s[0:1], v[1:2]
	s_cbranch_execz .LBB56_30
; %bb.20:
	s_mov_b32 s4, s27
	s_branch .LBB56_22
.LBB56_21:                              ;   in Loop: Header=BB56_22 Depth=1
	s_inst_prefetch 0x2
	s_or_b32 exec_lo, exec_lo, s5
	v_add_co_u32 v1, vcc_lo, 0x200, v1
	v_add_co_ci_u32_e64 v2, null, 0, v2, vcc_lo
	v_cmp_le_i64_e32 vcc_lo, s[0:1], v[1:2]
	s_or_b32 s2, vcc_lo, s2
	s_andn2_b32 exec_lo, exec_lo, s2
	s_cbranch_execz .LBB56_30
.LBB56_22:                              ; =>This Loop Header: Depth=1
                                        ;     Child Loop BB56_25 Depth 2
	v_lshlrev_b64 v[3:4], 3, v[1:2]
	s_mov_b32 s5, 0
                                        ; implicit-def: $sgpr6
	v_add_co_u32 v3, vcc_lo, s28, v3
	v_add_co_ci_u32_e64 v4, null, s29, v4, vcc_lo
	global_load_dwordx2 v[3:4], v[3:4], off
	s_waitcnt vmcnt(0)
	v_sub_co_u32 v3, vcc_lo, v3, s4
	v_subrev_co_ci_u32_e64 v4, null, 0, v4, vcc_lo
	v_mul_lo_u32 v5, 0x89, v3
	v_and_b32_e32 v7, 0x3ff, v5
	s_inst_prefetch 0x1
	s_branch .LBB56_25
	.p2align	6
.LBB56_23:                              ;   in Loop: Header=BB56_25 Depth=2
	s_or_b32 exec_lo, exec_lo, s8
	s_andn2_b32 s6, s6, exec_lo
	s_and_b32 s8, s9, exec_lo
	s_or_b32 s6, s6, s8
.LBB56_24:                              ;   in Loop: Header=BB56_25 Depth=2
	s_or_b32 exec_lo, exec_lo, s7
	s_xor_b32 s7, s6, -1
	s_and_b32 s7, exec_lo, s7
	s_or_b32 s5, s7, s5
	s_andn2_b32 exec_lo, exec_lo, s5
	s_cbranch_execz .LBB56_21
.LBB56_25:                              ;   Parent Loop BB56_22 Depth=1
                                        ; =>  This Inner Loop Header: Depth=2
	v_lshl_add_u32 v8, v7, 3, 0
	s_andn2_b32 s6, s6, exec_lo
	s_mov_b32 s7, exec_lo
	ds_read_b64 v[5:6], v8
	s_waitcnt lgkmcnt(0)
	v_cmpx_ne_u64_e64 v[5:6], v[3:4]
	s_cbranch_execz .LBB56_24
; %bb.26:                               ;   in Loop: Header=BB56_25 Depth=2
	s_mov_b32 s8, exec_lo
	v_cmpx_ne_u64_e64 s[16:17], v[5:6]
	s_xor_b32 s8, exec_lo, s8
; %bb.27:                               ;   in Loop: Header=BB56_25 Depth=2
	v_add_nc_u32_e32 v5, 1, v7
                                        ; implicit-def: $vgpr8
	v_and_b32_e32 v7, 0x3ff, v5
; %bb.28:                               ;   in Loop: Header=BB56_25 Depth=2
	s_or_saveexec_b32 s8, s8
	s_mov_b32 s9, -1
	s_xor_b32 exec_lo, exec_lo, s8
	s_cbranch_execz .LBB56_23
; %bb.29:                               ;   in Loop: Header=BB56_25 Depth=2
	v_mov_b32_e32 v5, s16
	v_mov_b32_e32 v6, s17
	ds_cmpst_rtn_b64 v[5:6], v8, v[5:6], v[3:4]
	s_waitcnt lgkmcnt(0)
	v_cmp_ne_u64_e32 vcc_lo, s[16:17], v[5:6]
	s_orn2_b32 s9, vcc_lo, exec_lo
	s_branch .LBB56_23
.LBB56_30:
	s_or_b32 exec_lo, exec_lo, s3
.LBB56_31:
	v_mbcnt_lo_u32_b32 v1, -1, 0
	v_mov_b32_e32 v3, 0
	v_mov_b32_e32 v2, 0
	v_lshl_add_u32 v9, v13, 3, 0
	v_cmp_lt_u32_e64 s0, 31, v0
	v_xor_b32_e32 v1, 31, v1
	v_cmp_lt_u32_e64 s1, 63, v0
	v_cmp_lt_u32_e64 s2, 0x5f, v0
	;; [unrolled: 1-line block ×4, first 2 shown]
	v_lshrrev_b32_e64 v10, v1, -1
	v_cmp_lt_u32_e64 s5, 0xbf, v0
	v_cmp_lt_u32_e64 s6, 0xdf, v0
	;; [unrolled: 1-line block ×9, first 2 shown]
	v_mov_b32_e32 v4, 0
	v_cmp_lt_u32_e64 s14, 0x1df, v0
	s_mov_b32 s20, 0
	v_cmp_eq_u32_e32 vcc_lo, 0x1ff, v0
	s_waitcnt lgkmcnt(0)
	s_barrier
	buffer_gl0_inv
	s_branch .LBB56_33
.LBB56_32:                              ;   in Loop: Header=BB56_33 Depth=1
	s_or_b32 exec_lo, exec_lo, s15
	s_waitcnt lgkmcnt(0)
	s_barrier
	buffer_gl0_inv
	ds_read_b64 v[5:6], v2 offset:8312
	v_add_co_u32 v12, s15, 0x200, v12
	s_xor_b32 s21, s15, -1
	v_add_nc_u32_e32 v11, 0x1000, v11
	s_waitcnt lgkmcnt(0)
	v_add_co_u32 v3, s15, v5, v3
	v_add_co_ci_u32_e64 v4, null, v6, v4, s15
	s_and_b32 s15, exec_lo, s21
	s_or_b32 s20, s15, s20
	s_andn2_b32 exec_lo, exec_lo, s20
	s_cbranch_execz .LBB56_67
.LBB56_33:                              ; =>This Inner Loop Header: Depth=1
	ds_read_b64 v[5:6], v11
	s_waitcnt lgkmcnt(0)
	s_barrier
	buffer_gl0_inv
	v_cmp_gt_i64_e64 s15, s[16:17], v[5:6]
	v_and_b32_e32 v7, s15, v10
	s_bcnt1_i32_b32 s21, s15
	v_mov_b32_e32 v1, s21
	v_bcnt_u32_b32 v7, v7, 0
	ds_write_b64 v9, v[1:2] offset:8192
	s_waitcnt lgkmcnt(0)
	s_barrier
	buffer_gl0_inv
	s_and_saveexec_b32 s21, s0
	s_cbranch_execnz .LBB56_50
; %bb.34:                               ;   in Loop: Header=BB56_33 Depth=1
	s_or_b32 exec_lo, exec_lo, s21
	s_and_saveexec_b32 s21, s1
	s_cbranch_execnz .LBB56_51
.LBB56_35:                              ;   in Loop: Header=BB56_33 Depth=1
	s_or_b32 exec_lo, exec_lo, s21
	s_and_saveexec_b32 s21, s2
	s_cbranch_execnz .LBB56_52
.LBB56_36:                              ;   in Loop: Header=BB56_33 Depth=1
	s_or_b32 exec_lo, exec_lo, s21
	s_and_saveexec_b32 s21, s3
	s_cbranch_execnz .LBB56_53
.LBB56_37:                              ;   in Loop: Header=BB56_33 Depth=1
	s_or_b32 exec_lo, exec_lo, s21
	s_and_saveexec_b32 s21, s4
	s_cbranch_execnz .LBB56_54
.LBB56_38:                              ;   in Loop: Header=BB56_33 Depth=1
	s_or_b32 exec_lo, exec_lo, s21
	s_and_saveexec_b32 s21, s5
	s_cbranch_execnz .LBB56_55
.LBB56_39:                              ;   in Loop: Header=BB56_33 Depth=1
	s_or_b32 exec_lo, exec_lo, s21
	s_and_saveexec_b32 s21, s6
	s_cbranch_execnz .LBB56_56
.LBB56_40:                              ;   in Loop: Header=BB56_33 Depth=1
	s_or_b32 exec_lo, exec_lo, s21
	s_and_saveexec_b32 s21, s7
	s_cbranch_execnz .LBB56_57
.LBB56_41:                              ;   in Loop: Header=BB56_33 Depth=1
	s_or_b32 exec_lo, exec_lo, s21
	s_and_saveexec_b32 s21, s8
	s_cbranch_execnz .LBB56_58
.LBB56_42:                              ;   in Loop: Header=BB56_33 Depth=1
	s_or_b32 exec_lo, exec_lo, s21
	s_and_saveexec_b32 s21, s9
	s_cbranch_execnz .LBB56_59
.LBB56_43:                              ;   in Loop: Header=BB56_33 Depth=1
	s_or_b32 exec_lo, exec_lo, s21
	s_and_saveexec_b32 s21, s10
	s_cbranch_execnz .LBB56_60
.LBB56_44:                              ;   in Loop: Header=BB56_33 Depth=1
	s_or_b32 exec_lo, exec_lo, s21
	s_and_saveexec_b32 s21, s11
	s_cbranch_execnz .LBB56_61
.LBB56_45:                              ;   in Loop: Header=BB56_33 Depth=1
	s_or_b32 exec_lo, exec_lo, s21
	s_and_saveexec_b32 s21, s12
	s_cbranch_execnz .LBB56_62
.LBB56_46:                              ;   in Loop: Header=BB56_33 Depth=1
	s_or_b32 exec_lo, exec_lo, s21
	s_and_saveexec_b32 s21, s13
	s_cbranch_execnz .LBB56_63
.LBB56_47:                              ;   in Loop: Header=BB56_33 Depth=1
	s_or_b32 exec_lo, exec_lo, s21
	s_and_saveexec_b32 s21, s14
	s_cbranch_execnz .LBB56_64
.LBB56_48:                              ;   in Loop: Header=BB56_33 Depth=1
	s_or_b32 exec_lo, exec_lo, s21
	v_ashrrev_i32_e32 v8, 31, v7
	s_and_saveexec_b32 s21, s15
	s_cbranch_execnz .LBB56_65
.LBB56_49:                              ;   in Loop: Header=BB56_33 Depth=1
	s_or_b32 exec_lo, exec_lo, s21
	s_and_saveexec_b32 s15, vcc_lo
	s_cbranch_execz .LBB56_32
	s_branch .LBB56_66
.LBB56_50:                              ;   in Loop: Header=BB56_33 Depth=1
	ds_read_b32 v1, v2 offset:8192
	s_waitcnt lgkmcnt(0)
	v_add_nc_u32_e32 v7, v1, v7
	s_or_b32 exec_lo, exec_lo, s21
	s_and_saveexec_b32 s21, s1
	s_cbranch_execz .LBB56_35
.LBB56_51:                              ;   in Loop: Header=BB56_33 Depth=1
	ds_read_b32 v1, v2 offset:8200
	s_waitcnt lgkmcnt(0)
	v_add_nc_u32_e32 v7, v7, v1
	s_or_b32 exec_lo, exec_lo, s21
	s_and_saveexec_b32 s21, s2
	s_cbranch_execz .LBB56_36
.LBB56_52:                              ;   in Loop: Header=BB56_33 Depth=1
	ds_read_b32 v1, v2 offset:8208
	s_waitcnt lgkmcnt(0)
	v_add_nc_u32_e32 v7, v7, v1
	s_or_b32 exec_lo, exec_lo, s21
	s_and_saveexec_b32 s21, s3
	s_cbranch_execz .LBB56_37
.LBB56_53:                              ;   in Loop: Header=BB56_33 Depth=1
	ds_read_b32 v1, v2 offset:8216
	s_waitcnt lgkmcnt(0)
	v_add_nc_u32_e32 v7, v7, v1
	s_or_b32 exec_lo, exec_lo, s21
	s_and_saveexec_b32 s21, s4
	s_cbranch_execz .LBB56_38
.LBB56_54:                              ;   in Loop: Header=BB56_33 Depth=1
	ds_read_b32 v1, v2 offset:8224
	s_waitcnt lgkmcnt(0)
	v_add_nc_u32_e32 v7, v7, v1
	s_or_b32 exec_lo, exec_lo, s21
	s_and_saveexec_b32 s21, s5
	s_cbranch_execz .LBB56_39
.LBB56_55:                              ;   in Loop: Header=BB56_33 Depth=1
	ds_read_b32 v1, v2 offset:8232
	s_waitcnt lgkmcnt(0)
	v_add_nc_u32_e32 v7, v7, v1
	s_or_b32 exec_lo, exec_lo, s21
	s_and_saveexec_b32 s21, s6
	s_cbranch_execz .LBB56_40
.LBB56_56:                              ;   in Loop: Header=BB56_33 Depth=1
	ds_read_b32 v1, v2 offset:8240
	s_waitcnt lgkmcnt(0)
	v_add_nc_u32_e32 v7, v7, v1
	s_or_b32 exec_lo, exec_lo, s21
	s_and_saveexec_b32 s21, s7
	s_cbranch_execz .LBB56_41
.LBB56_57:                              ;   in Loop: Header=BB56_33 Depth=1
	ds_read_b32 v1, v2 offset:8248
	s_waitcnt lgkmcnt(0)
	v_add_nc_u32_e32 v7, v7, v1
	s_or_b32 exec_lo, exec_lo, s21
	s_and_saveexec_b32 s21, s8
	s_cbranch_execz .LBB56_42
.LBB56_58:                              ;   in Loop: Header=BB56_33 Depth=1
	ds_read_b32 v1, v2 offset:8256
	s_waitcnt lgkmcnt(0)
	v_add_nc_u32_e32 v7, v7, v1
	s_or_b32 exec_lo, exec_lo, s21
	s_and_saveexec_b32 s21, s9
	s_cbranch_execz .LBB56_43
.LBB56_59:                              ;   in Loop: Header=BB56_33 Depth=1
	ds_read_b32 v1, v2 offset:8264
	s_waitcnt lgkmcnt(0)
	v_add_nc_u32_e32 v7, v7, v1
	s_or_b32 exec_lo, exec_lo, s21
	s_and_saveexec_b32 s21, s10
	s_cbranch_execz .LBB56_44
.LBB56_60:                              ;   in Loop: Header=BB56_33 Depth=1
	ds_read_b32 v1, v2 offset:8272
	s_waitcnt lgkmcnt(0)
	v_add_nc_u32_e32 v7, v7, v1
	s_or_b32 exec_lo, exec_lo, s21
	s_and_saveexec_b32 s21, s11
	s_cbranch_execz .LBB56_45
.LBB56_61:                              ;   in Loop: Header=BB56_33 Depth=1
	ds_read_b32 v1, v2 offset:8280
	s_waitcnt lgkmcnt(0)
	v_add_nc_u32_e32 v7, v7, v1
	s_or_b32 exec_lo, exec_lo, s21
	s_and_saveexec_b32 s21, s12
	s_cbranch_execz .LBB56_46
.LBB56_62:                              ;   in Loop: Header=BB56_33 Depth=1
	ds_read_b32 v1, v2 offset:8288
	s_waitcnt lgkmcnt(0)
	v_add_nc_u32_e32 v7, v7, v1
	s_or_b32 exec_lo, exec_lo, s21
	s_and_saveexec_b32 s21, s13
	s_cbranch_execz .LBB56_47
.LBB56_63:                              ;   in Loop: Header=BB56_33 Depth=1
	ds_read_b32 v1, v2 offset:8296
	s_waitcnt lgkmcnt(0)
	v_add_nc_u32_e32 v7, v7, v1
	s_or_b32 exec_lo, exec_lo, s21
	s_and_saveexec_b32 s21, s14
	s_cbranch_execz .LBB56_48
.LBB56_64:                              ;   in Loop: Header=BB56_33 Depth=1
	ds_read_b32 v1, v2 offset:8304
	s_waitcnt lgkmcnt(0)
	v_add_nc_u32_e32 v7, v7, v1
	s_or_b32 exec_lo, exec_lo, s21
	v_ashrrev_i32_e32 v8, 31, v7
	s_and_saveexec_b32 s21, s15
	s_cbranch_execz .LBB56_49
.LBB56_65:                              ;   in Loop: Header=BB56_33 Depth=1
	v_lshlrev_b32_e32 v1, 3, v3
	v_lshlrev_b32_e32 v13, 3, v7
	v_add_nc_u32_e32 v1, 0, v1
	v_add3_u32 v1, v1, v13, -8
	ds_write_b64 v1, v[5:6]
	s_or_b32 exec_lo, exec_lo, s21
	s_and_saveexec_b32 s15, vcc_lo
	s_cbranch_execz .LBB56_32
.LBB56_66:                              ;   in Loop: Header=BB56_33 Depth=1
	ds_write_b64 v2, v[7:8] offset:8312
	s_branch .LBB56_32
.LBB56_67:
	s_or_b32 exec_lo, exec_lo, s20
	s_lshl_b64 s[0:1], s[18:19], 3
	v_mov_b32_e32 v1, 0
	s_add_u32 s0, s30, s0
	s_addc_u32 s1, s31, s1
	s_mov_b32 s6, exec_lo
	s_load_dwordx4 s[0:3], s[0:1], 0x0
	s_waitcnt lgkmcnt(0)
	s_sub_u32 s4, s2, s0
	s_subb_u32 s5, s3, s1
	v_cmpx_gt_i64_e64 s[4:5], v[0:1]
	s_cbranch_execz .LBB56_77
; %bb.68:
	s_sub_u32 s8, s0, s26
	s_subb_u32 s9, s1, 0
	s_and_b32 s6, s4, 7
	s_sub_u32 s0, s0, s2
	s_subb_u32 s1, s1, s3
	s_mov_b32 s7, 0
	v_cmp_lt_u64_e64 s12, s[0:1], -7
	s_and_b32 s2, s4, -8
	s_cmp_lg_u64 s[6:7], 0
	s_mov_b32 s3, s5
	s_cselect_b32 s13, -1, 0
	s_mov_b32 s14, s7
	s_branch .LBB56_70
.LBB56_69:                              ;   in Loop: Header=BB56_70 Depth=1
	v_add_co_u32 v0, vcc_lo, 0x200, v0
	v_lshlrev_b64 v[4:5], 3, v[4:5]
	v_add_co_ci_u32_e64 v1, null, 0, v1, vcc_lo
	s_waitcnt lgkmcnt(0)
	v_add_co_u32 v2, vcc_lo, v2, s26
	v_add_co_ci_u32_e64 v3, null, 0, v3, vcc_lo
	v_cmp_le_i64_e32 vcc_lo, s[4:5], v[0:1]
	v_add_co_u32 v4, s0, s34, v4
	v_add_co_ci_u32_e64 v5, null, s35, v5, s0
	s_or_b32 s14, vcc_lo, s14
	global_store_dwordx2 v[4:5], v[2:3], off
	s_andn2_b32 exec_lo, exec_lo, s14
	s_cbranch_execz .LBB56_77
.LBB56_70:                              ; =>This Loop Header: Depth=1
                                        ;     Child Loop BB56_72 Depth 2
                                        ;     Child Loop BB56_76 Depth 2
	v_lshl_add_u32 v2, v0, 3, 0
	v_mov_b32_e32 v4, s8
	v_mov_b32_e32 v5, s9
	s_andn2_b32 vcc_lo, exec_lo, s12
	s_mov_b64 s[0:1], 0
	ds_read_b64 v[2:3], v2
	s_cbranch_vccnz .LBB56_74
; %bb.71:                               ;   in Loop: Header=BB56_70 Depth=1
	v_mov_b32_e32 v4, s8
	v_mov_b32_e32 v5, s9
	s_mov_b64 s[10:11], 0
	s_mov_b32 s1, 0
.LBB56_72:                              ;   Parent Loop BB56_70 Depth=1
                                        ; =>  This Inner Loop Header: Depth=2
	v_mov_b32_e32 v18, s1
	s_add_u32 s10, s10, 8
	s_addc_u32 s11, s11, 0
	s_add_i32 s1, s1, 64
	s_cmp_eq_u64 s[2:3], s[10:11]
	ds_read2_b64 v[6:9], v18 offset1:1
	ds_read2_b64 v[10:13], v18 offset0:2 offset1:3
	ds_read2_b64 v[14:17], v18 offset0:4 offset1:5
	;; [unrolled: 1-line block ×3, first 2 shown]
	s_waitcnt lgkmcnt(3)
	v_cmp_gt_i64_e32 vcc_lo, v[2:3], v[6:7]
	v_cndmask_b32_e64 v6, 0, 1, vcc_lo
	v_cmp_gt_i64_e32 vcc_lo, v[2:3], v[8:9]
	v_cndmask_b32_e64 v7, 0, 1, vcc_lo
	s_waitcnt lgkmcnt(2)
	v_cmp_gt_i64_e32 vcc_lo, v[2:3], v[10:11]
	v_cndmask_b32_e64 v8, 0, 1, vcc_lo
	v_cmp_gt_i64_e32 vcc_lo, v[2:3], v[12:13]
	v_cndmask_b32_e64 v9, 0, 1, vcc_lo
	s_waitcnt lgkmcnt(1)
	v_cmp_gt_i64_e32 vcc_lo, v[2:3], v[14:15]
	v_cndmask_b32_e64 v10, 0, 1, vcc_lo
	v_add_co_u32 v4, vcc_lo, v4, v6
	v_add_co_ci_u32_e64 v5, null, 0, v5, vcc_lo
	v_cmp_gt_i64_e32 vcc_lo, v[2:3], v[16:17]
	v_add_co_u32 v4, s0, v4, v7
	v_add_co_ci_u32_e64 v5, null, 0, v5, s0
	v_cndmask_b32_e64 v6, 0, 1, vcc_lo
	v_add_co_u32 v4, vcc_lo, v4, v8
	v_add_co_ci_u32_e64 v5, null, 0, v5, vcc_lo
	s_waitcnt lgkmcnt(0)
	v_cmp_gt_i64_e32 vcc_lo, v[2:3], v[18:19]
	v_add_co_u32 v4, s0, v4, v9
	v_add_co_ci_u32_e64 v5, null, 0, v5, s0
	v_cndmask_b32_e64 v7, 0, 1, vcc_lo
	v_add_co_u32 v4, vcc_lo, v4, v10
	v_add_co_ci_u32_e64 v5, null, 0, v5, vcc_lo
	v_cmp_gt_i64_e32 vcc_lo, v[2:3], v[20:21]
	v_add_co_u32 v4, s0, v4, v6
	v_add_co_ci_u32_e64 v5, null, 0, v5, s0
	v_cndmask_b32_e64 v6, 0, 1, vcc_lo
	v_add_co_u32 v4, vcc_lo, v4, v7
	v_add_co_ci_u32_e64 v5, null, 0, v5, vcc_lo
	v_add_co_u32 v4, vcc_lo, v4, v6
	v_add_co_ci_u32_e64 v5, null, 0, v5, vcc_lo
	s_cbranch_scc0 .LBB56_72
; %bb.73:                               ;   in Loop: Header=BB56_70 Depth=1
	s_mov_b64 s[0:1], s[2:3]
.LBB56_74:                              ;   in Loop: Header=BB56_70 Depth=1
	s_andn2_b32 vcc_lo, exec_lo, s13
	s_cbranch_vccnz .LBB56_69
; %bb.75:                               ;   in Loop: Header=BB56_70 Depth=1
	s_lshl_b32 s0, s0, 3
	s_add_i32 s10, s0, 0
	s_mov_b64 s[0:1], s[6:7]
.LBB56_76:                              ;   Parent Loop BB56_70 Depth=1
                                        ; =>  This Inner Loop Header: Depth=2
	v_mov_b32_e32 v6, s10
	s_add_i32 s10, s10, 8
	s_add_u32 s0, s0, -1
	s_addc_u32 s1, s1, -1
	s_cmp_lg_u64 s[0:1], 0
	ds_read_b64 v[6:7], v6
	s_waitcnt lgkmcnt(0)
	v_cmp_gt_i64_e32 vcc_lo, v[2:3], v[6:7]
	v_cndmask_b32_e64 v6, 0, 1, vcc_lo
	v_add_co_u32 v4, vcc_lo, v4, v6
	v_add_co_ci_u32_e64 v5, null, 0, v5, vcc_lo
	s_cbranch_scc1 .LBB56_76
	s_branch .LBB56_69
.LBB56_77:
	s_endpgm
	.section	.rodata,"a",@progbits
	.p2align	6, 0x0
	.amdhsa_kernel _ZN9rocsparseL35csrgemm_symbolic_fill_block_per_rowILj512ELj32ELj1024ELj137ELj32EllEEvT5_PKS1_S3_PKT4_S3_S6_S3_S6_S3_S6_PS1_21rocsparse_index_base_S8_S8_S8_bb
		.amdhsa_group_segment_fixed_size 0
		.amdhsa_private_segment_fixed_size 0
		.amdhsa_kernarg_size 108
		.amdhsa_user_sgpr_count 6
		.amdhsa_user_sgpr_private_segment_buffer 1
		.amdhsa_user_sgpr_dispatch_ptr 0
		.amdhsa_user_sgpr_queue_ptr 0
		.amdhsa_user_sgpr_kernarg_segment_ptr 1
		.amdhsa_user_sgpr_dispatch_id 0
		.amdhsa_user_sgpr_flat_scratch_init 0
		.amdhsa_user_sgpr_private_segment_size 0
		.amdhsa_wavefront_size32 1
		.amdhsa_uses_dynamic_stack 0
		.amdhsa_system_sgpr_private_segment_wavefront_offset 0
		.amdhsa_system_sgpr_workgroup_id_x 1
		.amdhsa_system_sgpr_workgroup_id_y 0
		.amdhsa_system_sgpr_workgroup_id_z 0
		.amdhsa_system_sgpr_workgroup_info 0
		.amdhsa_system_vgpr_workitem_id 0
		.amdhsa_next_free_vgpr 22
		.amdhsa_next_free_sgpr 36
		.amdhsa_reserve_vcc 1
		.amdhsa_reserve_flat_scratch 0
		.amdhsa_float_round_mode_32 0
		.amdhsa_float_round_mode_16_64 0
		.amdhsa_float_denorm_mode_32 3
		.amdhsa_float_denorm_mode_16_64 3
		.amdhsa_dx10_clamp 1
		.amdhsa_ieee_mode 1
		.amdhsa_fp16_overflow 0
		.amdhsa_workgroup_processor_mode 1
		.amdhsa_memory_ordered 1
		.amdhsa_forward_progress 1
		.amdhsa_shared_vgpr_count 0
		.amdhsa_exception_fp_ieee_invalid_op 0
		.amdhsa_exception_fp_denorm_src 0
		.amdhsa_exception_fp_ieee_div_zero 0
		.amdhsa_exception_fp_ieee_overflow 0
		.amdhsa_exception_fp_ieee_underflow 0
		.amdhsa_exception_fp_ieee_inexact 0
		.amdhsa_exception_int_div_zero 0
	.end_amdhsa_kernel
	.section	.text._ZN9rocsparseL35csrgemm_symbolic_fill_block_per_rowILj512ELj32ELj1024ELj137ELj32EllEEvT5_PKS1_S3_PKT4_S3_S6_S3_S6_S3_S6_PS1_21rocsparse_index_base_S8_S8_S8_bb,"axG",@progbits,_ZN9rocsparseL35csrgemm_symbolic_fill_block_per_rowILj512ELj32ELj1024ELj137ELj32EllEEvT5_PKS1_S3_PKT4_S3_S6_S3_S6_S3_S6_PS1_21rocsparse_index_base_S8_S8_S8_bb,comdat
.Lfunc_end56:
	.size	_ZN9rocsparseL35csrgemm_symbolic_fill_block_per_rowILj512ELj32ELj1024ELj137ELj32EllEEvT5_PKS1_S3_PKT4_S3_S6_S3_S6_S3_S6_PS1_21rocsparse_index_base_S8_S8_S8_bb, .Lfunc_end56-_ZN9rocsparseL35csrgemm_symbolic_fill_block_per_rowILj512ELj32ELj1024ELj137ELj32EllEEvT5_PKS1_S3_PKT4_S3_S6_S3_S6_S3_S6_PS1_21rocsparse_index_base_S8_S8_S8_bb
                                        ; -- End function
	.set _ZN9rocsparseL35csrgemm_symbolic_fill_block_per_rowILj512ELj32ELj1024ELj137ELj32EllEEvT5_PKS1_S3_PKT4_S3_S6_S3_S6_S3_S6_PS1_21rocsparse_index_base_S8_S8_S8_bb.num_vgpr, 22
	.set _ZN9rocsparseL35csrgemm_symbolic_fill_block_per_rowILj512ELj32ELj1024ELj137ELj32EllEEvT5_PKS1_S3_PKT4_S3_S6_S3_S6_S3_S6_PS1_21rocsparse_index_base_S8_S8_S8_bb.num_agpr, 0
	.set _ZN9rocsparseL35csrgemm_symbolic_fill_block_per_rowILj512ELj32ELj1024ELj137ELj32EllEEvT5_PKS1_S3_PKT4_S3_S6_S3_S6_S3_S6_PS1_21rocsparse_index_base_S8_S8_S8_bb.numbered_sgpr, 36
	.set _ZN9rocsparseL35csrgemm_symbolic_fill_block_per_rowILj512ELj32ELj1024ELj137ELj32EllEEvT5_PKS1_S3_PKT4_S3_S6_S3_S6_S3_S6_PS1_21rocsparse_index_base_S8_S8_S8_bb.num_named_barrier, 0
	.set _ZN9rocsparseL35csrgemm_symbolic_fill_block_per_rowILj512ELj32ELj1024ELj137ELj32EllEEvT5_PKS1_S3_PKT4_S3_S6_S3_S6_S3_S6_PS1_21rocsparse_index_base_S8_S8_S8_bb.private_seg_size, 0
	.set _ZN9rocsparseL35csrgemm_symbolic_fill_block_per_rowILj512ELj32ELj1024ELj137ELj32EllEEvT5_PKS1_S3_PKT4_S3_S6_S3_S6_S3_S6_PS1_21rocsparse_index_base_S8_S8_S8_bb.uses_vcc, 1
	.set _ZN9rocsparseL35csrgemm_symbolic_fill_block_per_rowILj512ELj32ELj1024ELj137ELj32EllEEvT5_PKS1_S3_PKT4_S3_S6_S3_S6_S3_S6_PS1_21rocsparse_index_base_S8_S8_S8_bb.uses_flat_scratch, 0
	.set _ZN9rocsparseL35csrgemm_symbolic_fill_block_per_rowILj512ELj32ELj1024ELj137ELj32EllEEvT5_PKS1_S3_PKT4_S3_S6_S3_S6_S3_S6_PS1_21rocsparse_index_base_S8_S8_S8_bb.has_dyn_sized_stack, 0
	.set _ZN9rocsparseL35csrgemm_symbolic_fill_block_per_rowILj512ELj32ELj1024ELj137ELj32EllEEvT5_PKS1_S3_PKT4_S3_S6_S3_S6_S3_S6_PS1_21rocsparse_index_base_S8_S8_S8_bb.has_recursion, 0
	.set _ZN9rocsparseL35csrgemm_symbolic_fill_block_per_rowILj512ELj32ELj1024ELj137ELj32EllEEvT5_PKS1_S3_PKT4_S3_S6_S3_S6_S3_S6_PS1_21rocsparse_index_base_S8_S8_S8_bb.has_indirect_call, 0
	.section	.AMDGPU.csdata,"",@progbits
; Kernel info:
; codeLenInByte = 3048
; TotalNumSgprs: 38
; NumVgprs: 22
; ScratchSize: 0
; MemoryBound: 0
; FloatMode: 240
; IeeeMode: 1
; LDSByteSize: 0 bytes/workgroup (compile time only)
; SGPRBlocks: 0
; VGPRBlocks: 2
; NumSGPRsForWavesPerEU: 38
; NumVGPRsForWavesPerEU: 22
; Occupancy: 16
; WaveLimiterHint : 1
; COMPUTE_PGM_RSRC2:SCRATCH_EN: 0
; COMPUTE_PGM_RSRC2:USER_SGPR: 6
; COMPUTE_PGM_RSRC2:TRAP_HANDLER: 0
; COMPUTE_PGM_RSRC2:TGID_X_EN: 1
; COMPUTE_PGM_RSRC2:TGID_Y_EN: 0
; COMPUTE_PGM_RSRC2:TGID_Z_EN: 0
; COMPUTE_PGM_RSRC2:TIDIG_COMP_CNT: 0
	.section	.text._ZN9rocsparseL35csrgemm_symbolic_fill_block_per_rowILj512ELj32ELj1024ELj137ELj64EllEEvT5_PKS1_S3_PKT4_S3_S6_S3_S6_S3_S6_PS1_21rocsparse_index_base_S8_S8_S8_bb,"axG",@progbits,_ZN9rocsparseL35csrgemm_symbolic_fill_block_per_rowILj512ELj32ELj1024ELj137ELj64EllEEvT5_PKS1_S3_PKT4_S3_S6_S3_S6_S3_S6_PS1_21rocsparse_index_base_S8_S8_S8_bb,comdat
	.globl	_ZN9rocsparseL35csrgemm_symbolic_fill_block_per_rowILj512ELj32ELj1024ELj137ELj64EllEEvT5_PKS1_S3_PKT4_S3_S6_S3_S6_S3_S6_PS1_21rocsparse_index_base_S8_S8_S8_bb ; -- Begin function _ZN9rocsparseL35csrgemm_symbolic_fill_block_per_rowILj512ELj32ELj1024ELj137ELj64EllEEvT5_PKS1_S3_PKT4_S3_S6_S3_S6_S3_S6_PS1_21rocsparse_index_base_S8_S8_S8_bb
	.p2align	8
	.type	_ZN9rocsparseL35csrgemm_symbolic_fill_block_per_rowILj512ELj32ELj1024ELj137ELj64EllEEvT5_PKS1_S3_PKT4_S3_S6_S3_S6_S3_S6_PS1_21rocsparse_index_base_S8_S8_S8_bb,@function
_ZN9rocsparseL35csrgemm_symbolic_fill_block_per_rowILj512ELj32ELj1024ELj137ELj64EllEEvT5_PKS1_S3_PKT4_S3_S6_S3_S6_S3_S6_PS1_21rocsparse_index_base_S8_S8_S8_bb: ; @_ZN9rocsparseL35csrgemm_symbolic_fill_block_per_rowILj512ELj32ELj1024ELj137ELj64EllEEvT5_PKS1_S3_PKT4_S3_S6_S3_S6_S3_S6_PS1_21rocsparse_index_base_S8_S8_S8_bb
; %bb.0:
	s_clause 0x3
	s_load_dwordx8 s[8:15], s[4:5], 0x0
	s_load_dwordx2 s[34:35], s[4:5], 0x50
	s_load_dwordx4 s[28:31], s[4:5], 0x40
	s_load_dwordx8 s[16:23], s[4:5], 0x20
	v_lshl_add_u32 v11, v0, 3, 0
	v_or_b32_e32 v12, 0xfffffe00, v0
	s_mov_b32 s0, 0
	v_mov_b32_e32 v3, v11
	v_mov_b32_e32 v4, v12
	s_waitcnt lgkmcnt(0)
	v_mov_b32_e32 v1, s8
	v_mov_b32_e32 v2, s9
.LBB57_1:                               ; =>This Inner Loop Header: Depth=1
	v_add_co_u32 v4, s1, 0x200, v4
	s_xor_b32 s1, s1, -1
	ds_write_b64 v3, v[1:2]
	v_add_nc_u32_e32 v3, 0x1000, v3
	s_and_b32 s1, exec_lo, s1
	s_or_b32 s0, s1, s0
	s_andn2_b32 exec_lo, exec_lo, s0
	s_cbranch_execnz .LBB57_1
; %bb.2:
	s_or_b32 exec_lo, exec_lo, s0
	s_load_dword s2, s[4:5], 0x68
	s_waitcnt lgkmcnt(0)
	s_barrier
	buffer_gl0_inv
	s_load_dwordx2 s[0:1], s[10:11], 0x0
	s_mov_b32 s7, 0
	s_bitcmp1_b32 s2, 0
	s_cselect_b32 s3, -1, 0
	s_waitcnt lgkmcnt(0)
	s_lshl_b64 s[0:1], s[0:1], 3
	s_add_u32 s10, s12, s0
	s_addc_u32 s11, s13, s1
	s_lshl_b64 s[0:1], s[6:7], 3
	s_add_u32 s0, s10, s0
	s_addc_u32 s1, s11, s1
	s_load_dwordx4 s[24:27], s[4:5], 0x58
	s_load_dwordx2 s[10:11], s[0:1], 0x0
	s_and_b32 vcc_lo, exec_lo, s3
	s_cbranch_vccz .LBB57_18
; %bb.3:
	s_waitcnt lgkmcnt(0)
	s_lshl_b64 s[0:1], s[10:11], 3
	v_lshrrev_b32_e32 v1, 5, v0
	s_add_u32 s0, s14, s0
	s_addc_u32 s1, s15, s1
	s_mov_b32 s3, exec_lo
	s_load_dwordx4 s[4:7], s[0:1], 0x0
	v_sub_co_u32 v1, s0, v1, s24
	v_sub_co_ci_u32_e64 v2, null, 0, 0, s0
	s_waitcnt lgkmcnt(0)
	v_add_co_u32 v1, vcc_lo, s4, v1
	v_add_co_ci_u32_e64 v2, null, s5, v2, vcc_lo
	s_sub_u32 s0, s6, s24
	s_subb_u32 s1, s7, 0
	v_cmpx_gt_i64_e64 s[0:1], v[1:2]
	s_cbranch_execz .LBB57_17
; %bb.4:
	v_and_b32_e32 v3, 31, v0
	s_mov_b32 s5, s25
	v_sub_co_u32 v13, s4, v3, s25
	v_sub_co_ci_u32_e64 v14, null, 0, 0, s4
	s_mov_b32 s4, 0
	s_branch .LBB57_6
.LBB57_5:                               ;   in Loop: Header=BB57_6 Depth=1
	s_or_b32 exec_lo, exec_lo, s6
	v_add_co_u32 v1, vcc_lo, v1, 16
	v_add_co_ci_u32_e64 v2, null, 0, v2, vcc_lo
	v_cmp_le_i64_e32 vcc_lo, s[0:1], v[1:2]
	s_or_b32 s4, vcc_lo, s4
	s_andn2_b32 exec_lo, exec_lo, s4
	s_cbranch_execz .LBB57_17
.LBB57_6:                               ; =>This Loop Header: Depth=1
                                        ;     Child Loop BB57_9 Depth 2
                                        ;       Child Loop BB57_12 Depth 3
	v_lshlrev_b64 v[3:4], 3, v[1:2]
	s_mov_b32 s6, exec_lo
	v_add_co_u32 v3, vcc_lo, s16, v3
	v_add_co_ci_u32_e64 v4, null, s17, v4, vcc_lo
	global_load_dwordx2 v[3:4], v[3:4], off
	s_waitcnt vmcnt(0)
	v_sub_co_u32 v3, vcc_lo, v3, s24
	v_subrev_co_ci_u32_e64 v4, null, 0, v4, vcc_lo
	v_lshlrev_b64 v[3:4], 3, v[3:4]
	v_add_co_u32 v3, vcc_lo, s18, v3
	v_add_co_ci_u32_e64 v4, null, s19, v4, vcc_lo
	global_load_dwordx4 v[5:8], v[3:4], off
	s_waitcnt vmcnt(0)
	v_sub_co_u32 v3, vcc_lo, v7, s5
	v_subrev_co_ci_u32_e64 v4, null, 0, v8, vcc_lo
	v_add_co_u32 v5, vcc_lo, v5, v13
	v_add_co_ci_u32_e64 v6, null, v6, v14, vcc_lo
	v_cmpx_lt_i64_e64 v[5:6], v[3:4]
	s_cbranch_execz .LBB57_5
; %bb.7:                                ;   in Loop: Header=BB57_6 Depth=1
	s_mov_b32 s7, 0
	s_branch .LBB57_9
.LBB57_8:                               ;   in Loop: Header=BB57_9 Depth=2
	s_inst_prefetch 0x2
	s_or_b32 exec_lo, exec_lo, s12
	v_add_co_u32 v5, vcc_lo, v5, 32
	v_add_co_ci_u32_e64 v6, null, 0, v6, vcc_lo
	v_cmp_ge_i64_e32 vcc_lo, v[5:6], v[3:4]
	s_or_b32 s7, vcc_lo, s7
	s_andn2_b32 exec_lo, exec_lo, s7
	s_cbranch_execz .LBB57_5
.LBB57_9:                               ;   Parent Loop BB57_6 Depth=1
                                        ; =>  This Loop Header: Depth=2
                                        ;       Child Loop BB57_12 Depth 3
	v_lshlrev_b64 v[7:8], 3, v[5:6]
	s_mov_b32 s12, 0
                                        ; implicit-def: $sgpr13
	v_add_co_u32 v7, vcc_lo, s20, v7
	v_add_co_ci_u32_e64 v8, null, s21, v8, vcc_lo
	global_load_dwordx2 v[7:8], v[7:8], off
	s_waitcnt vmcnt(0)
	v_sub_co_u32 v7, vcc_lo, v7, s5
	v_subrev_co_ci_u32_e64 v8, null, 0, v8, vcc_lo
	v_mul_lo_u32 v9, 0x89, v7
	v_and_b32_e32 v15, 0x3ff, v9
	s_inst_prefetch 0x1
	s_branch .LBB57_12
	.p2align	6
.LBB57_10:                              ;   in Loop: Header=BB57_12 Depth=3
	s_or_b32 exec_lo, exec_lo, s15
	s_andn2_b32 s13, s13, exec_lo
	s_and_b32 s15, s25, exec_lo
	s_or_b32 s13, s13, s15
.LBB57_11:                              ;   in Loop: Header=BB57_12 Depth=3
	s_or_b32 exec_lo, exec_lo, s14
	s_xor_b32 s14, s13, -1
	s_and_b32 s14, exec_lo, s14
	s_or_b32 s12, s14, s12
	s_andn2_b32 exec_lo, exec_lo, s12
	s_cbranch_execz .LBB57_8
.LBB57_12:                              ;   Parent Loop BB57_6 Depth=1
                                        ;     Parent Loop BB57_9 Depth=2
                                        ; =>    This Inner Loop Header: Depth=3
	v_lshl_add_u32 v16, v15, 3, 0
	s_andn2_b32 s13, s13, exec_lo
	s_mov_b32 s14, exec_lo
	ds_read_b64 v[9:10], v16
	s_waitcnt lgkmcnt(0)
	v_cmpx_ne_u64_e64 v[9:10], v[7:8]
	s_cbranch_execz .LBB57_11
; %bb.13:                               ;   in Loop: Header=BB57_12 Depth=3
	s_mov_b32 s15, exec_lo
	v_cmpx_ne_u64_e64 s[8:9], v[9:10]
	s_xor_b32 s15, exec_lo, s15
; %bb.14:                               ;   in Loop: Header=BB57_12 Depth=3
	v_add_nc_u32_e32 v9, 1, v15
                                        ; implicit-def: $vgpr16
	v_and_b32_e32 v15, 0x3ff, v9
; %bb.15:                               ;   in Loop: Header=BB57_12 Depth=3
	s_or_saveexec_b32 s15, s15
	s_mov_b32 s25, -1
	s_xor_b32 exec_lo, exec_lo, s15
	s_cbranch_execz .LBB57_10
; %bb.16:                               ;   in Loop: Header=BB57_12 Depth=3
	v_mov_b32_e32 v10, s9
	v_mov_b32_e32 v9, s8
	ds_cmpst_rtn_b64 v[9:10], v16, v[9:10], v[7:8]
	s_waitcnt lgkmcnt(0)
	v_cmp_ne_u64_e32 vcc_lo, s[8:9], v[9:10]
	s_orn2_b32 s25, vcc_lo, exec_lo
	s_branch .LBB57_10
.LBB57_17:
	s_or_b32 exec_lo, exec_lo, s3
.LBB57_18:
	s_bfe_u32 s0, s2, 0x10008
	s_cmp_eq_u32 s0, 0
	s_cbranch_scc1 .LBB57_31
; %bb.19:
	s_waitcnt lgkmcnt(0)
	s_lshl_b64 s[0:1], s[10:11], 3
	v_sub_co_u32 v1, s4, v0, s27
	s_add_u32 s0, s22, s0
	s_addc_u32 s1, s23, s1
	v_sub_co_ci_u32_e64 v2, null, 0, 0, s4
	s_load_dwordx4 s[0:3], s[0:1], 0x0
	s_waitcnt lgkmcnt(0)
	v_add_co_u32 v1, vcc_lo, s0, v1
	v_add_co_ci_u32_e64 v2, null, s1, v2, vcc_lo
	s_sub_u32 s0, s2, s27
	s_subb_u32 s1, s3, 0
	s_mov_b32 s2, 0
	s_mov_b32 s3, exec_lo
	v_cmpx_gt_i64_e64 s[0:1], v[1:2]
	s_cbranch_execz .LBB57_30
; %bb.20:
	s_mov_b32 s4, s27
	s_branch .LBB57_22
.LBB57_21:                              ;   in Loop: Header=BB57_22 Depth=1
	s_inst_prefetch 0x2
	s_or_b32 exec_lo, exec_lo, s5
	v_add_co_u32 v1, vcc_lo, 0x200, v1
	v_add_co_ci_u32_e64 v2, null, 0, v2, vcc_lo
	v_cmp_le_i64_e32 vcc_lo, s[0:1], v[1:2]
	s_or_b32 s2, vcc_lo, s2
	s_andn2_b32 exec_lo, exec_lo, s2
	s_cbranch_execz .LBB57_30
.LBB57_22:                              ; =>This Loop Header: Depth=1
                                        ;     Child Loop BB57_25 Depth 2
	v_lshlrev_b64 v[3:4], 3, v[1:2]
	s_mov_b32 s5, 0
                                        ; implicit-def: $sgpr6
	v_add_co_u32 v3, vcc_lo, s28, v3
	v_add_co_ci_u32_e64 v4, null, s29, v4, vcc_lo
	global_load_dwordx2 v[3:4], v[3:4], off
	s_waitcnt vmcnt(0)
	v_sub_co_u32 v3, vcc_lo, v3, s4
	v_subrev_co_ci_u32_e64 v4, null, 0, v4, vcc_lo
	v_mul_lo_u32 v5, 0x89, v3
	v_and_b32_e32 v7, 0x3ff, v5
	s_inst_prefetch 0x1
	s_branch .LBB57_25
	.p2align	6
.LBB57_23:                              ;   in Loop: Header=BB57_25 Depth=2
	s_or_b32 exec_lo, exec_lo, s12
	s_andn2_b32 s6, s6, exec_lo
	s_and_b32 s12, s13, exec_lo
	s_or_b32 s6, s6, s12
.LBB57_24:                              ;   in Loop: Header=BB57_25 Depth=2
	s_or_b32 exec_lo, exec_lo, s7
	s_xor_b32 s7, s6, -1
	s_and_b32 s7, exec_lo, s7
	s_or_b32 s5, s7, s5
	s_andn2_b32 exec_lo, exec_lo, s5
	s_cbranch_execz .LBB57_21
.LBB57_25:                              ;   Parent Loop BB57_22 Depth=1
                                        ; =>  This Inner Loop Header: Depth=2
	v_lshl_add_u32 v8, v7, 3, 0
	s_andn2_b32 s6, s6, exec_lo
	s_mov_b32 s7, exec_lo
	ds_read_b64 v[5:6], v8
	s_waitcnt lgkmcnt(0)
	v_cmpx_ne_u64_e64 v[5:6], v[3:4]
	s_cbranch_execz .LBB57_24
; %bb.26:                               ;   in Loop: Header=BB57_25 Depth=2
	s_mov_b32 s12, exec_lo
	v_cmpx_ne_u64_e64 s[8:9], v[5:6]
	s_xor_b32 s12, exec_lo, s12
; %bb.27:                               ;   in Loop: Header=BB57_25 Depth=2
	v_add_nc_u32_e32 v5, 1, v7
                                        ; implicit-def: $vgpr8
	v_and_b32_e32 v7, 0x3ff, v5
; %bb.28:                               ;   in Loop: Header=BB57_25 Depth=2
	s_or_saveexec_b32 s12, s12
	s_mov_b32 s13, -1
	s_xor_b32 exec_lo, exec_lo, s12
	s_cbranch_execz .LBB57_23
; %bb.29:                               ;   in Loop: Header=BB57_25 Depth=2
	v_mov_b32_e32 v5, s8
	v_mov_b32_e32 v6, s9
	ds_cmpst_rtn_b64 v[5:6], v8, v[5:6], v[3:4]
	s_waitcnt lgkmcnt(0)
	v_cmp_ne_u64_e32 vcc_lo, s[8:9], v[5:6]
	s_orn2_b32 s13, vcc_lo, exec_lo
	s_branch .LBB57_23
.LBB57_30:
	s_or_b32 exec_lo, exec_lo, s3
.LBB57_31:
	v_lshrrev_b32_e32 v3, 3, v0
	v_mbcnt_lo_u32_b32 v1, -1, 0
	v_mov_b32_e32 v2, 0
	v_cmp_lt_u32_e64 s0, 63, v0
	v_cmp_lt_u32_e64 s1, 0x7f, v0
	v_and_b32_e32 v3, 56, v3
	v_xor_b32_e32 v1, 31, v1
	v_cmp_lt_u32_e64 s2, 0xbf, v0
	v_cmp_lt_u32_e64 s3, 0xff, v0
	;; [unrolled: 1-line block ×3, first 2 shown]
	v_add_nc_u32_e32 v10, 0, v3
	v_mov_b32_e32 v3, 0
	v_lshrrev_b32_e64 v9, v1, -1
	v_cmp_lt_u32_e64 s5, 0x17f, v0
	v_mov_b32_e32 v4, 0
	v_cmp_lt_u32_e64 s6, 0x1bf, v0
	s_mov_b32 s12, 0
	v_cmp_eq_u32_e32 vcc_lo, 0x1ff, v0
	s_waitcnt lgkmcnt(0)
	s_barrier
	buffer_gl0_inv
	s_branch .LBB57_33
.LBB57_32:                              ;   in Loop: Header=BB57_33 Depth=1
	s_or_b32 exec_lo, exec_lo, s7
	s_waitcnt lgkmcnt(0)
	s_barrier
	buffer_gl0_inv
	ds_read_b64 v[5:6], v2 offset:8248
	v_add_co_u32 v12, s7, 0x200, v12
	s_xor_b32 s13, s7, -1
	v_add_nc_u32_e32 v11, 0x1000, v11
	s_waitcnt lgkmcnt(0)
	v_add_co_u32 v3, s7, v5, v3
	v_add_co_ci_u32_e64 v4, null, v6, v4, s7
	s_and_b32 s7, exec_lo, s13
	s_or_b32 s12, s7, s12
	s_andn2_b32 exec_lo, exec_lo, s12
	s_cbranch_execz .LBB57_51
.LBB57_33:                              ; =>This Inner Loop Header: Depth=1
	ds_read_b64 v[5:6], v11
	s_waitcnt lgkmcnt(0)
	s_barrier
	buffer_gl0_inv
	v_cmp_gt_i64_e64 s7, s[8:9], v[5:6]
	v_and_b32_e32 v7, s7, v9
	s_bcnt1_i32_b32 s13, s7
	v_mov_b32_e32 v1, s13
	v_bcnt_u32_b32 v7, v7, 0
	ds_write_b64 v10, v[1:2] offset:8192
	s_waitcnt lgkmcnt(0)
	s_barrier
	buffer_gl0_inv
	s_and_saveexec_b32 s13, s0
	s_cbranch_execnz .LBB57_42
; %bb.34:                               ;   in Loop: Header=BB57_33 Depth=1
	s_or_b32 exec_lo, exec_lo, s13
	s_and_saveexec_b32 s13, s1
	s_cbranch_execnz .LBB57_43
.LBB57_35:                              ;   in Loop: Header=BB57_33 Depth=1
	s_or_b32 exec_lo, exec_lo, s13
	s_and_saveexec_b32 s13, s2
	s_cbranch_execnz .LBB57_44
.LBB57_36:                              ;   in Loop: Header=BB57_33 Depth=1
	s_or_b32 exec_lo, exec_lo, s13
	s_and_saveexec_b32 s13, s3
	s_cbranch_execnz .LBB57_45
.LBB57_37:                              ;   in Loop: Header=BB57_33 Depth=1
	s_or_b32 exec_lo, exec_lo, s13
	s_and_saveexec_b32 s13, s4
	s_cbranch_execnz .LBB57_46
.LBB57_38:                              ;   in Loop: Header=BB57_33 Depth=1
	s_or_b32 exec_lo, exec_lo, s13
	s_and_saveexec_b32 s13, s5
	s_cbranch_execnz .LBB57_47
.LBB57_39:                              ;   in Loop: Header=BB57_33 Depth=1
	s_or_b32 exec_lo, exec_lo, s13
	s_and_saveexec_b32 s13, s6
	s_cbranch_execnz .LBB57_48
.LBB57_40:                              ;   in Loop: Header=BB57_33 Depth=1
	s_or_b32 exec_lo, exec_lo, s13
	v_ashrrev_i32_e32 v8, 31, v7
	s_and_saveexec_b32 s13, s7
	s_cbranch_execnz .LBB57_49
.LBB57_41:                              ;   in Loop: Header=BB57_33 Depth=1
	s_or_b32 exec_lo, exec_lo, s13
	s_and_saveexec_b32 s7, vcc_lo
	s_cbranch_execz .LBB57_32
	s_branch .LBB57_50
.LBB57_42:                              ;   in Loop: Header=BB57_33 Depth=1
	ds_read_b32 v1, v2 offset:8192
	s_waitcnt lgkmcnt(0)
	v_add_nc_u32_e32 v7, v1, v7
	s_or_b32 exec_lo, exec_lo, s13
	s_and_saveexec_b32 s13, s1
	s_cbranch_execz .LBB57_35
.LBB57_43:                              ;   in Loop: Header=BB57_33 Depth=1
	ds_read_b32 v1, v2 offset:8200
	s_waitcnt lgkmcnt(0)
	v_add_nc_u32_e32 v7, v7, v1
	s_or_b32 exec_lo, exec_lo, s13
	s_and_saveexec_b32 s13, s2
	s_cbranch_execz .LBB57_36
.LBB57_44:                              ;   in Loop: Header=BB57_33 Depth=1
	ds_read_b32 v1, v2 offset:8208
	s_waitcnt lgkmcnt(0)
	v_add_nc_u32_e32 v7, v7, v1
	s_or_b32 exec_lo, exec_lo, s13
	s_and_saveexec_b32 s13, s3
	s_cbranch_execz .LBB57_37
.LBB57_45:                              ;   in Loop: Header=BB57_33 Depth=1
	ds_read_b32 v1, v2 offset:8216
	s_waitcnt lgkmcnt(0)
	v_add_nc_u32_e32 v7, v7, v1
	s_or_b32 exec_lo, exec_lo, s13
	s_and_saveexec_b32 s13, s4
	s_cbranch_execz .LBB57_38
.LBB57_46:                              ;   in Loop: Header=BB57_33 Depth=1
	ds_read_b32 v1, v2 offset:8224
	s_waitcnt lgkmcnt(0)
	v_add_nc_u32_e32 v7, v7, v1
	s_or_b32 exec_lo, exec_lo, s13
	s_and_saveexec_b32 s13, s5
	s_cbranch_execz .LBB57_39
.LBB57_47:                              ;   in Loop: Header=BB57_33 Depth=1
	ds_read_b32 v1, v2 offset:8232
	s_waitcnt lgkmcnt(0)
	v_add_nc_u32_e32 v7, v7, v1
	s_or_b32 exec_lo, exec_lo, s13
	s_and_saveexec_b32 s13, s6
	s_cbranch_execz .LBB57_40
.LBB57_48:                              ;   in Loop: Header=BB57_33 Depth=1
	ds_read_b32 v1, v2 offset:8240
	s_waitcnt lgkmcnt(0)
	v_add_nc_u32_e32 v7, v7, v1
	s_or_b32 exec_lo, exec_lo, s13
	v_ashrrev_i32_e32 v8, 31, v7
	s_and_saveexec_b32 s13, s7
	s_cbranch_execz .LBB57_41
.LBB57_49:                              ;   in Loop: Header=BB57_33 Depth=1
	v_lshlrev_b32_e32 v1, 3, v3
	v_lshlrev_b32_e32 v13, 3, v7
	v_add_nc_u32_e32 v1, 0, v1
	v_add3_u32 v1, v1, v13, -8
	ds_write_b64 v1, v[5:6]
	s_or_b32 exec_lo, exec_lo, s13
	s_and_saveexec_b32 s7, vcc_lo
	s_cbranch_execz .LBB57_32
.LBB57_50:                              ;   in Loop: Header=BB57_33 Depth=1
	ds_write_b64 v2, v[7:8] offset:8248
	s_branch .LBB57_32
.LBB57_51:
	s_or_b32 exec_lo, exec_lo, s12
	s_lshl_b64 s[0:1], s[10:11], 3
	v_mov_b32_e32 v1, 0
	s_add_u32 s0, s30, s0
	s_addc_u32 s1, s31, s1
	s_mov_b32 s6, exec_lo
	s_load_dwordx4 s[0:3], s[0:1], 0x0
	s_waitcnt lgkmcnt(0)
	s_sub_u32 s4, s2, s0
	s_subb_u32 s5, s3, s1
	v_cmpx_gt_i64_e64 s[4:5], v[0:1]
	s_cbranch_execz .LBB57_61
; %bb.52:
	s_sub_u32 s8, s0, s26
	s_subb_u32 s9, s1, 0
	s_and_b32 s6, s4, 7
	s_sub_u32 s0, s0, s2
	s_subb_u32 s1, s1, s3
	s_mov_b32 s7, 0
	v_cmp_lt_u64_e64 s12, s[0:1], -7
	s_and_b32 s2, s4, -8
	s_cmp_lg_u64 s[6:7], 0
	s_mov_b32 s3, s5
	s_cselect_b32 s13, -1, 0
	s_mov_b32 s14, s7
	s_branch .LBB57_54
.LBB57_53:                              ;   in Loop: Header=BB57_54 Depth=1
	v_add_co_u32 v0, vcc_lo, 0x200, v0
	v_lshlrev_b64 v[4:5], 3, v[4:5]
	v_add_co_ci_u32_e64 v1, null, 0, v1, vcc_lo
	s_waitcnt lgkmcnt(0)
	v_add_co_u32 v2, vcc_lo, v2, s26
	v_add_co_ci_u32_e64 v3, null, 0, v3, vcc_lo
	v_cmp_le_i64_e32 vcc_lo, s[4:5], v[0:1]
	v_add_co_u32 v4, s0, s34, v4
	v_add_co_ci_u32_e64 v5, null, s35, v5, s0
	s_or_b32 s14, vcc_lo, s14
	global_store_dwordx2 v[4:5], v[2:3], off
	s_andn2_b32 exec_lo, exec_lo, s14
	s_cbranch_execz .LBB57_61
.LBB57_54:                              ; =>This Loop Header: Depth=1
                                        ;     Child Loop BB57_56 Depth 2
                                        ;     Child Loop BB57_60 Depth 2
	v_lshl_add_u32 v2, v0, 3, 0
	v_mov_b32_e32 v4, s8
	v_mov_b32_e32 v5, s9
	s_andn2_b32 vcc_lo, exec_lo, s12
	s_mov_b64 s[0:1], 0
	ds_read_b64 v[2:3], v2
	s_cbranch_vccnz .LBB57_58
; %bb.55:                               ;   in Loop: Header=BB57_54 Depth=1
	v_mov_b32_e32 v4, s8
	v_mov_b32_e32 v5, s9
	s_mov_b64 s[10:11], 0
	s_mov_b32 s1, 0
.LBB57_56:                              ;   Parent Loop BB57_54 Depth=1
                                        ; =>  This Inner Loop Header: Depth=2
	v_mov_b32_e32 v18, s1
	s_add_u32 s10, s10, 8
	s_addc_u32 s11, s11, 0
	s_add_i32 s1, s1, 64
	s_cmp_eq_u64 s[2:3], s[10:11]
	ds_read2_b64 v[6:9], v18 offset1:1
	ds_read2_b64 v[10:13], v18 offset0:2 offset1:3
	ds_read2_b64 v[14:17], v18 offset0:4 offset1:5
	;; [unrolled: 1-line block ×3, first 2 shown]
	s_waitcnt lgkmcnt(3)
	v_cmp_gt_i64_e32 vcc_lo, v[2:3], v[6:7]
	v_cndmask_b32_e64 v6, 0, 1, vcc_lo
	v_cmp_gt_i64_e32 vcc_lo, v[2:3], v[8:9]
	v_cndmask_b32_e64 v7, 0, 1, vcc_lo
	s_waitcnt lgkmcnt(2)
	v_cmp_gt_i64_e32 vcc_lo, v[2:3], v[10:11]
	v_cndmask_b32_e64 v8, 0, 1, vcc_lo
	v_cmp_gt_i64_e32 vcc_lo, v[2:3], v[12:13]
	v_cndmask_b32_e64 v9, 0, 1, vcc_lo
	s_waitcnt lgkmcnt(1)
	v_cmp_gt_i64_e32 vcc_lo, v[2:3], v[14:15]
	v_cndmask_b32_e64 v10, 0, 1, vcc_lo
	v_add_co_u32 v4, vcc_lo, v4, v6
	v_add_co_ci_u32_e64 v5, null, 0, v5, vcc_lo
	v_cmp_gt_i64_e32 vcc_lo, v[2:3], v[16:17]
	v_add_co_u32 v4, s0, v4, v7
	v_add_co_ci_u32_e64 v5, null, 0, v5, s0
	v_cndmask_b32_e64 v6, 0, 1, vcc_lo
	v_add_co_u32 v4, vcc_lo, v4, v8
	v_add_co_ci_u32_e64 v5, null, 0, v5, vcc_lo
	s_waitcnt lgkmcnt(0)
	v_cmp_gt_i64_e32 vcc_lo, v[2:3], v[18:19]
	v_add_co_u32 v4, s0, v4, v9
	v_add_co_ci_u32_e64 v5, null, 0, v5, s0
	v_cndmask_b32_e64 v7, 0, 1, vcc_lo
	v_add_co_u32 v4, vcc_lo, v4, v10
	v_add_co_ci_u32_e64 v5, null, 0, v5, vcc_lo
	v_cmp_gt_i64_e32 vcc_lo, v[2:3], v[20:21]
	v_add_co_u32 v4, s0, v4, v6
	v_add_co_ci_u32_e64 v5, null, 0, v5, s0
	v_cndmask_b32_e64 v6, 0, 1, vcc_lo
	v_add_co_u32 v4, vcc_lo, v4, v7
	v_add_co_ci_u32_e64 v5, null, 0, v5, vcc_lo
	v_add_co_u32 v4, vcc_lo, v4, v6
	v_add_co_ci_u32_e64 v5, null, 0, v5, vcc_lo
	s_cbranch_scc0 .LBB57_56
; %bb.57:                               ;   in Loop: Header=BB57_54 Depth=1
	s_mov_b64 s[0:1], s[2:3]
.LBB57_58:                              ;   in Loop: Header=BB57_54 Depth=1
	s_andn2_b32 vcc_lo, exec_lo, s13
	s_cbranch_vccnz .LBB57_53
; %bb.59:                               ;   in Loop: Header=BB57_54 Depth=1
	s_lshl_b32 s0, s0, 3
	s_add_i32 s10, s0, 0
	s_mov_b64 s[0:1], s[6:7]
.LBB57_60:                              ;   Parent Loop BB57_54 Depth=1
                                        ; =>  This Inner Loop Header: Depth=2
	v_mov_b32_e32 v6, s10
	s_add_i32 s10, s10, 8
	s_add_u32 s0, s0, -1
	s_addc_u32 s1, s1, -1
	s_cmp_lg_u64 s[0:1], 0
	ds_read_b64 v[6:7], v6
	s_waitcnt lgkmcnt(0)
	v_cmp_gt_i64_e32 vcc_lo, v[2:3], v[6:7]
	v_cndmask_b32_e64 v6, 0, 1, vcc_lo
	v_add_co_u32 v4, vcc_lo, v4, v6
	v_add_co_ci_u32_e64 v5, null, 0, v5, vcc_lo
	s_cbranch_scc1 .LBB57_60
	s_branch .LBB57_53
.LBB57_61:
	s_endpgm
	.section	.rodata,"a",@progbits
	.p2align	6, 0x0
	.amdhsa_kernel _ZN9rocsparseL35csrgemm_symbolic_fill_block_per_rowILj512ELj32ELj1024ELj137ELj64EllEEvT5_PKS1_S3_PKT4_S3_S6_S3_S6_S3_S6_PS1_21rocsparse_index_base_S8_S8_S8_bb
		.amdhsa_group_segment_fixed_size 0
		.amdhsa_private_segment_fixed_size 0
		.amdhsa_kernarg_size 108
		.amdhsa_user_sgpr_count 6
		.amdhsa_user_sgpr_private_segment_buffer 1
		.amdhsa_user_sgpr_dispatch_ptr 0
		.amdhsa_user_sgpr_queue_ptr 0
		.amdhsa_user_sgpr_kernarg_segment_ptr 1
		.amdhsa_user_sgpr_dispatch_id 0
		.amdhsa_user_sgpr_flat_scratch_init 0
		.amdhsa_user_sgpr_private_segment_size 0
		.amdhsa_wavefront_size32 1
		.amdhsa_uses_dynamic_stack 0
		.amdhsa_system_sgpr_private_segment_wavefront_offset 0
		.amdhsa_system_sgpr_workgroup_id_x 1
		.amdhsa_system_sgpr_workgroup_id_y 0
		.amdhsa_system_sgpr_workgroup_id_z 0
		.amdhsa_system_sgpr_workgroup_info 0
		.amdhsa_system_vgpr_workitem_id 0
		.amdhsa_next_free_vgpr 22
		.amdhsa_next_free_sgpr 36
		.amdhsa_reserve_vcc 1
		.amdhsa_reserve_flat_scratch 0
		.amdhsa_float_round_mode_32 0
		.amdhsa_float_round_mode_16_64 0
		.amdhsa_float_denorm_mode_32 3
		.amdhsa_float_denorm_mode_16_64 3
		.amdhsa_dx10_clamp 1
		.amdhsa_ieee_mode 1
		.amdhsa_fp16_overflow 0
		.amdhsa_workgroup_processor_mode 1
		.amdhsa_memory_ordered 1
		.amdhsa_forward_progress 1
		.amdhsa_shared_vgpr_count 0
		.amdhsa_exception_fp_ieee_invalid_op 0
		.amdhsa_exception_fp_denorm_src 0
		.amdhsa_exception_fp_ieee_div_zero 0
		.amdhsa_exception_fp_ieee_overflow 0
		.amdhsa_exception_fp_ieee_underflow 0
		.amdhsa_exception_fp_ieee_inexact 0
		.amdhsa_exception_int_div_zero 0
	.end_amdhsa_kernel
	.section	.text._ZN9rocsparseL35csrgemm_symbolic_fill_block_per_rowILj512ELj32ELj1024ELj137ELj64EllEEvT5_PKS1_S3_PKT4_S3_S6_S3_S6_S3_S6_PS1_21rocsparse_index_base_S8_S8_S8_bb,"axG",@progbits,_ZN9rocsparseL35csrgemm_symbolic_fill_block_per_rowILj512ELj32ELj1024ELj137ELj64EllEEvT5_PKS1_S3_PKT4_S3_S6_S3_S6_S3_S6_PS1_21rocsparse_index_base_S8_S8_S8_bb,comdat
.Lfunc_end57:
	.size	_ZN9rocsparseL35csrgemm_symbolic_fill_block_per_rowILj512ELj32ELj1024ELj137ELj64EllEEvT5_PKS1_S3_PKT4_S3_S6_S3_S6_S3_S6_PS1_21rocsparse_index_base_S8_S8_S8_bb, .Lfunc_end57-_ZN9rocsparseL35csrgemm_symbolic_fill_block_per_rowILj512ELj32ELj1024ELj137ELj64EllEEvT5_PKS1_S3_PKT4_S3_S6_S3_S6_S3_S6_PS1_21rocsparse_index_base_S8_S8_S8_bb
                                        ; -- End function
	.set _ZN9rocsparseL35csrgemm_symbolic_fill_block_per_rowILj512ELj32ELj1024ELj137ELj64EllEEvT5_PKS1_S3_PKT4_S3_S6_S3_S6_S3_S6_PS1_21rocsparse_index_base_S8_S8_S8_bb.num_vgpr, 22
	.set _ZN9rocsparseL35csrgemm_symbolic_fill_block_per_rowILj512ELj32ELj1024ELj137ELj64EllEEvT5_PKS1_S3_PKT4_S3_S6_S3_S6_S3_S6_PS1_21rocsparse_index_base_S8_S8_S8_bb.num_agpr, 0
	.set _ZN9rocsparseL35csrgemm_symbolic_fill_block_per_rowILj512ELj32ELj1024ELj137ELj64EllEEvT5_PKS1_S3_PKT4_S3_S6_S3_S6_S3_S6_PS1_21rocsparse_index_base_S8_S8_S8_bb.numbered_sgpr, 36
	.set _ZN9rocsparseL35csrgemm_symbolic_fill_block_per_rowILj512ELj32ELj1024ELj137ELj64EllEEvT5_PKS1_S3_PKT4_S3_S6_S3_S6_S3_S6_PS1_21rocsparse_index_base_S8_S8_S8_bb.num_named_barrier, 0
	.set _ZN9rocsparseL35csrgemm_symbolic_fill_block_per_rowILj512ELj32ELj1024ELj137ELj64EllEEvT5_PKS1_S3_PKT4_S3_S6_S3_S6_S3_S6_PS1_21rocsparse_index_base_S8_S8_S8_bb.private_seg_size, 0
	.set _ZN9rocsparseL35csrgemm_symbolic_fill_block_per_rowILj512ELj32ELj1024ELj137ELj64EllEEvT5_PKS1_S3_PKT4_S3_S6_S3_S6_S3_S6_PS1_21rocsparse_index_base_S8_S8_S8_bb.uses_vcc, 1
	.set _ZN9rocsparseL35csrgemm_symbolic_fill_block_per_rowILj512ELj32ELj1024ELj137ELj64EllEEvT5_PKS1_S3_PKT4_S3_S6_S3_S6_S3_S6_PS1_21rocsparse_index_base_S8_S8_S8_bb.uses_flat_scratch, 0
	.set _ZN9rocsparseL35csrgemm_symbolic_fill_block_per_rowILj512ELj32ELj1024ELj137ELj64EllEEvT5_PKS1_S3_PKT4_S3_S6_S3_S6_S3_S6_PS1_21rocsparse_index_base_S8_S8_S8_bb.has_dyn_sized_stack, 0
	.set _ZN9rocsparseL35csrgemm_symbolic_fill_block_per_rowILj512ELj32ELj1024ELj137ELj64EllEEvT5_PKS1_S3_PKT4_S3_S6_S3_S6_S3_S6_PS1_21rocsparse_index_base_S8_S8_S8_bb.has_recursion, 0
	.set _ZN9rocsparseL35csrgemm_symbolic_fill_block_per_rowILj512ELj32ELj1024ELj137ELj64EllEEvT5_PKS1_S3_PKT4_S3_S6_S3_S6_S3_S6_PS1_21rocsparse_index_base_S8_S8_S8_bb.has_indirect_call, 0
	.section	.AMDGPU.csdata,"",@progbits
; Kernel info:
; codeLenInByte = 2640
; TotalNumSgprs: 38
; NumVgprs: 22
; ScratchSize: 0
; MemoryBound: 0
; FloatMode: 240
; IeeeMode: 1
; LDSByteSize: 0 bytes/workgroup (compile time only)
; SGPRBlocks: 0
; VGPRBlocks: 2
; NumSGPRsForWavesPerEU: 38
; NumVGPRsForWavesPerEU: 22
; Occupancy: 16
; WaveLimiterHint : 1
; COMPUTE_PGM_RSRC2:SCRATCH_EN: 0
; COMPUTE_PGM_RSRC2:USER_SGPR: 6
; COMPUTE_PGM_RSRC2:TRAP_HANDLER: 0
; COMPUTE_PGM_RSRC2:TGID_X_EN: 1
; COMPUTE_PGM_RSRC2:TGID_Y_EN: 0
; COMPUTE_PGM_RSRC2:TGID_Z_EN: 0
; COMPUTE_PGM_RSRC2:TIDIG_COMP_CNT: 0
	.section	.text._ZN9rocsparseL35csrgemm_symbolic_fill_block_per_rowILj1024ELj32ELj2048ELj137ELj32EllEEvT5_PKS1_S3_PKT4_S3_S6_S3_S6_S3_S6_PS1_21rocsparse_index_base_S8_S8_S8_bb,"axG",@progbits,_ZN9rocsparseL35csrgemm_symbolic_fill_block_per_rowILj1024ELj32ELj2048ELj137ELj32EllEEvT5_PKS1_S3_PKT4_S3_S6_S3_S6_S3_S6_PS1_21rocsparse_index_base_S8_S8_S8_bb,comdat
	.globl	_ZN9rocsparseL35csrgemm_symbolic_fill_block_per_rowILj1024ELj32ELj2048ELj137ELj32EllEEvT5_PKS1_S3_PKT4_S3_S6_S3_S6_S3_S6_PS1_21rocsparse_index_base_S8_S8_S8_bb ; -- Begin function _ZN9rocsparseL35csrgemm_symbolic_fill_block_per_rowILj1024ELj32ELj2048ELj137ELj32EllEEvT5_PKS1_S3_PKT4_S3_S6_S3_S6_S3_S6_PS1_21rocsparse_index_base_S8_S8_S8_bb
	.p2align	8
	.type	_ZN9rocsparseL35csrgemm_symbolic_fill_block_per_rowILj1024ELj32ELj2048ELj137ELj32EllEEvT5_PKS1_S3_PKT4_S3_S6_S3_S6_S3_S6_PS1_21rocsparse_index_base_S8_S8_S8_bb,@function
_ZN9rocsparseL35csrgemm_symbolic_fill_block_per_rowILj1024ELj32ELj2048ELj137ELj32EllEEvT5_PKS1_S3_PKT4_S3_S6_S3_S6_S3_S6_PS1_21rocsparse_index_base_S8_S8_S8_bb: ; @_ZN9rocsparseL35csrgemm_symbolic_fill_block_per_rowILj1024ELj32ELj2048ELj137ELj32EllEEvT5_PKS1_S3_PKT4_S3_S6_S3_S6_S3_S6_PS1_21rocsparse_index_base_S8_S8_S8_bb
; %bb.0:
	s_clause 0x3
	s_load_dwordx8 s[36:43], s[4:5], 0x0
	s_load_dwordx2 s[34:35], s[4:5], 0x50
	s_load_dwordx4 s[48:51], s[4:5], 0x40
	s_load_dwordx8 s[8:15], s[4:5], 0x20
	v_lshl_add_u32 v11, v0, 3, 0
	v_or_b32_e32 v12, 0xfffffc00, v0
	s_mov_b32 s0, 0
	v_mov_b32_e32 v3, v11
	v_mov_b32_e32 v4, v12
	s_waitcnt lgkmcnt(0)
	v_mov_b32_e32 v1, s36
	v_mov_b32_e32 v2, s37
.LBB58_1:                               ; =>This Inner Loop Header: Depth=1
	v_add_co_u32 v4, s1, 0x400, v4
	s_xor_b32 s1, s1, -1
	ds_write_b64 v3, v[1:2]
	v_add_nc_u32_e32 v3, 0x2000, v3
	s_and_b32 s1, exec_lo, s1
	s_or_b32 s0, s1, s0
	s_andn2_b32 exec_lo, exec_lo, s0
	s_cbranch_execnz .LBB58_1
; %bb.2:
	s_or_b32 exec_lo, exec_lo, s0
	s_load_dword s2, s[4:5], 0x68
	s_waitcnt lgkmcnt(0)
	s_barrier
	buffer_gl0_inv
	s_load_dwordx2 s[0:1], s[38:39], 0x0
	s_mov_b32 s7, 0
	v_lshrrev_b32_e32 v13, 5, v0
	s_bitcmp1_b32 s2, 0
	s_cselect_b32 s3, -1, 0
	s_waitcnt lgkmcnt(0)
	s_lshl_b64 s[0:1], s[0:1], 3
	s_add_u32 s16, s40, s0
	s_addc_u32 s17, s41, s1
	s_lshl_b64 s[0:1], s[6:7], 3
	s_add_u32 s0, s16, s0
	s_addc_u32 s1, s17, s1
	s_load_dwordx4 s[44:47], s[4:5], 0x58
	s_load_dwordx2 s[38:39], s[0:1], 0x0
	s_and_b32 vcc_lo, exec_lo, s3
	s_cbranch_vccz .LBB58_18
; %bb.3:
	s_waitcnt lgkmcnt(0)
	s_lshl_b64 s[0:1], s[38:39], 3
	s_mov_b32 s3, exec_lo
	s_add_u32 s0, s42, s0
	s_addc_u32 s1, s43, s1
	s_load_dwordx4 s[4:7], s[0:1], 0x0
	v_sub_co_u32 v1, s0, v13, s44
	v_sub_co_ci_u32_e64 v2, null, 0, 0, s0
	s_waitcnt lgkmcnt(0)
	v_add_co_u32 v1, vcc_lo, s4, v1
	v_add_co_ci_u32_e64 v2, null, s5, v2, vcc_lo
	s_sub_u32 s0, s6, s44
	s_subb_u32 s1, s7, 0
	v_cmpx_gt_i64_e64 s[0:1], v[1:2]
	s_cbranch_execz .LBB58_17
; %bb.4:
	v_and_b32_e32 v3, 31, v0
	s_mov_b32 s5, s45
	v_sub_co_u32 v14, s4, v3, s45
	v_sub_co_ci_u32_e64 v15, null, 0, 0, s4
	s_mov_b32 s4, 0
	s_branch .LBB58_6
.LBB58_5:                               ;   in Loop: Header=BB58_6 Depth=1
	s_or_b32 exec_lo, exec_lo, s6
	v_add_co_u32 v1, vcc_lo, v1, 32
	v_add_co_ci_u32_e64 v2, null, 0, v2, vcc_lo
	v_cmp_le_i64_e32 vcc_lo, s[0:1], v[1:2]
	s_or_b32 s4, vcc_lo, s4
	s_andn2_b32 exec_lo, exec_lo, s4
	s_cbranch_execz .LBB58_17
.LBB58_6:                               ; =>This Loop Header: Depth=1
                                        ;     Child Loop BB58_9 Depth 2
                                        ;       Child Loop BB58_12 Depth 3
	v_lshlrev_b64 v[3:4], 3, v[1:2]
	s_mov_b32 s6, exec_lo
	v_add_co_u32 v3, vcc_lo, s8, v3
	v_add_co_ci_u32_e64 v4, null, s9, v4, vcc_lo
	global_load_dwordx2 v[3:4], v[3:4], off
	s_waitcnt vmcnt(0)
	v_sub_co_u32 v3, vcc_lo, v3, s44
	v_subrev_co_ci_u32_e64 v4, null, 0, v4, vcc_lo
	v_lshlrev_b64 v[3:4], 3, v[3:4]
	v_add_co_u32 v3, vcc_lo, s10, v3
	v_add_co_ci_u32_e64 v4, null, s11, v4, vcc_lo
	global_load_dwordx4 v[5:8], v[3:4], off
	s_waitcnt vmcnt(0)
	v_sub_co_u32 v3, vcc_lo, v7, s5
	v_subrev_co_ci_u32_e64 v4, null, 0, v8, vcc_lo
	v_add_co_u32 v5, vcc_lo, v5, v14
	v_add_co_ci_u32_e64 v6, null, v6, v15, vcc_lo
	v_cmpx_lt_i64_e64 v[5:6], v[3:4]
	s_cbranch_execz .LBB58_5
; %bb.7:                                ;   in Loop: Header=BB58_6 Depth=1
	s_mov_b32 s7, 0
	s_branch .LBB58_9
.LBB58_8:                               ;   in Loop: Header=BB58_9 Depth=2
	s_inst_prefetch 0x2
	s_or_b32 exec_lo, exec_lo, s16
	v_add_co_u32 v5, vcc_lo, v5, 32
	v_add_co_ci_u32_e64 v6, null, 0, v6, vcc_lo
	v_cmp_ge_i64_e32 vcc_lo, v[5:6], v[3:4]
	s_or_b32 s7, vcc_lo, s7
	s_andn2_b32 exec_lo, exec_lo, s7
	s_cbranch_execz .LBB58_5
.LBB58_9:                               ;   Parent Loop BB58_6 Depth=1
                                        ; =>  This Loop Header: Depth=2
                                        ;       Child Loop BB58_12 Depth 3
	v_lshlrev_b64 v[7:8], 3, v[5:6]
	s_mov_b32 s16, 0
                                        ; implicit-def: $sgpr17
	v_add_co_u32 v7, vcc_lo, s12, v7
	v_add_co_ci_u32_e64 v8, null, s13, v8, vcc_lo
	global_load_dwordx2 v[7:8], v[7:8], off
	s_waitcnt vmcnt(0)
	v_sub_co_u32 v7, vcc_lo, v7, s5
	v_subrev_co_ci_u32_e64 v8, null, 0, v8, vcc_lo
	v_mul_lo_u32 v9, 0x89, v7
	v_and_b32_e32 v16, 0x7ff, v9
	s_inst_prefetch 0x1
	s_branch .LBB58_12
	.p2align	6
.LBB58_10:                              ;   in Loop: Header=BB58_12 Depth=3
	s_or_b32 exec_lo, exec_lo, s19
	s_andn2_b32 s17, s17, exec_lo
	s_and_b32 s19, s20, exec_lo
	s_or_b32 s17, s17, s19
.LBB58_11:                              ;   in Loop: Header=BB58_12 Depth=3
	s_or_b32 exec_lo, exec_lo, s18
	s_xor_b32 s18, s17, -1
	s_and_b32 s18, exec_lo, s18
	s_or_b32 s16, s18, s16
	s_andn2_b32 exec_lo, exec_lo, s16
	s_cbranch_execz .LBB58_8
.LBB58_12:                              ;   Parent Loop BB58_6 Depth=1
                                        ;     Parent Loop BB58_9 Depth=2
                                        ; =>    This Inner Loop Header: Depth=3
	v_lshl_add_u32 v17, v16, 3, 0
	s_andn2_b32 s17, s17, exec_lo
	s_mov_b32 s18, exec_lo
	ds_read_b64 v[9:10], v17
	s_waitcnt lgkmcnt(0)
	v_cmpx_ne_u64_e64 v[9:10], v[7:8]
	s_cbranch_execz .LBB58_11
; %bb.13:                               ;   in Loop: Header=BB58_12 Depth=3
	s_mov_b32 s19, exec_lo
	v_cmpx_ne_u64_e64 s[36:37], v[9:10]
	s_xor_b32 s19, exec_lo, s19
; %bb.14:                               ;   in Loop: Header=BB58_12 Depth=3
	v_add_nc_u32_e32 v9, 1, v16
                                        ; implicit-def: $vgpr17
	v_and_b32_e32 v16, 0x7ff, v9
; %bb.15:                               ;   in Loop: Header=BB58_12 Depth=3
	s_or_saveexec_b32 s19, s19
	s_mov_b32 s20, -1
	s_xor_b32 exec_lo, exec_lo, s19
	s_cbranch_execz .LBB58_10
; %bb.16:                               ;   in Loop: Header=BB58_12 Depth=3
	v_mov_b32_e32 v9, s36
	v_mov_b32_e32 v10, s37
	ds_cmpst_rtn_b64 v[9:10], v17, v[9:10], v[7:8]
	s_waitcnt lgkmcnt(0)
	v_cmp_ne_u64_e32 vcc_lo, s[36:37], v[9:10]
	s_orn2_b32 s20, vcc_lo, exec_lo
	s_branch .LBB58_10
.LBB58_17:
	s_or_b32 exec_lo, exec_lo, s3
.LBB58_18:
	s_bfe_u32 s0, s2, 0x10008
	s_cmp_eq_u32 s0, 0
	s_cbranch_scc1 .LBB58_31
; %bb.19:
	s_waitcnt lgkmcnt(0)
	s_lshl_b64 s[0:1], s[38:39], 3
	v_sub_co_u32 v1, s4, v0, s47
	s_add_u32 s0, s14, s0
	s_addc_u32 s1, s15, s1
	v_sub_co_ci_u32_e64 v2, null, 0, 0, s4
	s_load_dwordx4 s[0:3], s[0:1], 0x0
	s_waitcnt lgkmcnt(0)
	v_add_co_u32 v1, vcc_lo, s0, v1
	v_add_co_ci_u32_e64 v2, null, s1, v2, vcc_lo
	s_sub_u32 s0, s2, s47
	s_subb_u32 s1, s3, 0
	s_mov_b32 s2, 0
	s_mov_b32 s3, exec_lo
	v_cmpx_gt_i64_e64 s[0:1], v[1:2]
	s_cbranch_execz .LBB58_30
; %bb.20:
	s_mov_b32 s4, s47
	s_branch .LBB58_22
.LBB58_21:                              ;   in Loop: Header=BB58_22 Depth=1
	s_inst_prefetch 0x2
	s_or_b32 exec_lo, exec_lo, s5
	v_add_co_u32 v1, vcc_lo, 0x400, v1
	v_add_co_ci_u32_e64 v2, null, 0, v2, vcc_lo
	v_cmp_le_i64_e32 vcc_lo, s[0:1], v[1:2]
	s_or_b32 s2, vcc_lo, s2
	s_andn2_b32 exec_lo, exec_lo, s2
	s_cbranch_execz .LBB58_30
.LBB58_22:                              ; =>This Loop Header: Depth=1
                                        ;     Child Loop BB58_25 Depth 2
	v_lshlrev_b64 v[3:4], 3, v[1:2]
	s_mov_b32 s5, 0
                                        ; implicit-def: $sgpr6
	v_add_co_u32 v3, vcc_lo, s48, v3
	v_add_co_ci_u32_e64 v4, null, s49, v4, vcc_lo
	global_load_dwordx2 v[3:4], v[3:4], off
	s_waitcnt vmcnt(0)
	v_sub_co_u32 v3, vcc_lo, v3, s4
	v_subrev_co_ci_u32_e64 v4, null, 0, v4, vcc_lo
	v_mul_lo_u32 v5, 0x89, v3
	v_and_b32_e32 v7, 0x7ff, v5
	s_inst_prefetch 0x1
	s_branch .LBB58_25
	.p2align	6
.LBB58_23:                              ;   in Loop: Header=BB58_25 Depth=2
	s_or_b32 exec_lo, exec_lo, s8
	s_andn2_b32 s6, s6, exec_lo
	s_and_b32 s8, s9, exec_lo
	s_or_b32 s6, s6, s8
.LBB58_24:                              ;   in Loop: Header=BB58_25 Depth=2
	s_or_b32 exec_lo, exec_lo, s7
	s_xor_b32 s7, s6, -1
	s_and_b32 s7, exec_lo, s7
	s_or_b32 s5, s7, s5
	s_andn2_b32 exec_lo, exec_lo, s5
	s_cbranch_execz .LBB58_21
.LBB58_25:                              ;   Parent Loop BB58_22 Depth=1
                                        ; =>  This Inner Loop Header: Depth=2
	v_lshl_add_u32 v8, v7, 3, 0
	s_andn2_b32 s6, s6, exec_lo
	s_mov_b32 s7, exec_lo
	ds_read_b64 v[5:6], v8
	s_waitcnt lgkmcnt(0)
	v_cmpx_ne_u64_e64 v[5:6], v[3:4]
	s_cbranch_execz .LBB58_24
; %bb.26:                               ;   in Loop: Header=BB58_25 Depth=2
	s_mov_b32 s8, exec_lo
	v_cmpx_ne_u64_e64 s[36:37], v[5:6]
	s_xor_b32 s8, exec_lo, s8
; %bb.27:                               ;   in Loop: Header=BB58_25 Depth=2
	v_add_nc_u32_e32 v5, 1, v7
                                        ; implicit-def: $vgpr8
	v_and_b32_e32 v7, 0x7ff, v5
; %bb.28:                               ;   in Loop: Header=BB58_25 Depth=2
	s_or_saveexec_b32 s8, s8
	s_mov_b32 s9, -1
	s_xor_b32 exec_lo, exec_lo, s8
	s_cbranch_execz .LBB58_23
; %bb.29:                               ;   in Loop: Header=BB58_25 Depth=2
	v_mov_b32_e32 v5, s36
	v_mov_b32_e32 v6, s37
	ds_cmpst_rtn_b64 v[5:6], v8, v[5:6], v[3:4]
	s_waitcnt lgkmcnt(0)
	v_cmp_ne_u64_e32 vcc_lo, s[36:37], v[5:6]
	s_orn2_b32 s9, vcc_lo, exec_lo
	s_branch .LBB58_23
.LBB58_30:
	s_or_b32 exec_lo, exec_lo, s3
.LBB58_31:
	v_mbcnt_lo_u32_b32 v1, -1, 0
	v_mov_b32_e32 v3, 0
	v_mov_b32_e32 v2, 0
	v_lshl_add_u32 v9, v13, 3, 0
	v_cmp_lt_u32_e64 s0, 31, v0
	v_xor_b32_e32 v1, 31, v1
	v_cmp_lt_u32_e64 s1, 63, v0
	v_cmp_lt_u32_e64 s2, 0x5f, v0
	;; [unrolled: 1-line block ×4, first 2 shown]
	v_lshrrev_b32_e64 v10, v1, -1
	v_cmp_lt_u32_e64 s5, 0xbf, v0
	v_cmp_lt_u32_e64 s6, 0xdf, v0
	;; [unrolled: 1-line block ×25, first 2 shown]
	v_mov_b32_e32 v4, 0
	v_cmp_lt_u32_e64 s30, 0x3df, v0
	s_mov_b32 s33, 0
	v_cmp_eq_u32_e32 vcc_lo, 0x3ff, v0
	s_waitcnt lgkmcnt(0)
	s_barrier
	buffer_gl0_inv
	s_branch .LBB58_33
.LBB58_32:                              ;   in Loop: Header=BB58_33 Depth=1
	s_or_b32 exec_lo, exec_lo, s31
	s_waitcnt lgkmcnt(0)
	s_barrier
	buffer_gl0_inv
	ds_read_b64 v[5:6], v2 offset:16632
	v_add_co_u32 v12, s31, 0x400, v12
	s_xor_b32 s40, s31, -1
	v_add_nc_u32_e32 v11, 0x2000, v11
	s_waitcnt lgkmcnt(0)
	v_add_co_u32 v3, s31, v5, v3
	v_add_co_ci_u32_e64 v4, null, v6, v4, s31
	s_and_b32 s31, exec_lo, s40
	s_or_b32 s33, s31, s33
	s_andn2_b32 exec_lo, exec_lo, s33
	s_cbranch_execz .LBB58_99
.LBB58_33:                              ; =>This Inner Loop Header: Depth=1
	ds_read_b64 v[5:6], v11
	s_waitcnt lgkmcnt(0)
	s_barrier
	buffer_gl0_inv
	v_cmp_gt_i64_e64 s31, s[36:37], v[5:6]
	v_and_b32_e32 v7, s31, v10
	s_bcnt1_i32_b32 s40, s31
	v_mov_b32_e32 v1, s40
	v_bcnt_u32_b32 v7, v7, 0
	ds_write_b64 v9, v[1:2] offset:16384
	s_waitcnt lgkmcnt(0)
	s_barrier
	buffer_gl0_inv
	s_and_saveexec_b32 s40, s0
	s_cbranch_execnz .LBB58_66
; %bb.34:                               ;   in Loop: Header=BB58_33 Depth=1
	s_or_b32 exec_lo, exec_lo, s40
	s_and_saveexec_b32 s40, s1
	s_cbranch_execnz .LBB58_67
.LBB58_35:                              ;   in Loop: Header=BB58_33 Depth=1
	s_or_b32 exec_lo, exec_lo, s40
	s_and_saveexec_b32 s40, s2
	s_cbranch_execnz .LBB58_68
.LBB58_36:                              ;   in Loop: Header=BB58_33 Depth=1
	s_or_b32 exec_lo, exec_lo, s40
	s_and_saveexec_b32 s40, s3
	s_cbranch_execnz .LBB58_69
.LBB58_37:                              ;   in Loop: Header=BB58_33 Depth=1
	s_or_b32 exec_lo, exec_lo, s40
	s_and_saveexec_b32 s40, s4
	s_cbranch_execnz .LBB58_70
.LBB58_38:                              ;   in Loop: Header=BB58_33 Depth=1
	s_or_b32 exec_lo, exec_lo, s40
	s_and_saveexec_b32 s40, s5
	s_cbranch_execnz .LBB58_71
.LBB58_39:                              ;   in Loop: Header=BB58_33 Depth=1
	s_or_b32 exec_lo, exec_lo, s40
	s_and_saveexec_b32 s40, s6
	s_cbranch_execnz .LBB58_72
.LBB58_40:                              ;   in Loop: Header=BB58_33 Depth=1
	s_or_b32 exec_lo, exec_lo, s40
	s_and_saveexec_b32 s40, s7
	s_cbranch_execnz .LBB58_73
.LBB58_41:                              ;   in Loop: Header=BB58_33 Depth=1
	s_or_b32 exec_lo, exec_lo, s40
	s_and_saveexec_b32 s40, s8
	s_cbranch_execnz .LBB58_74
.LBB58_42:                              ;   in Loop: Header=BB58_33 Depth=1
	s_or_b32 exec_lo, exec_lo, s40
	s_and_saveexec_b32 s40, s9
	s_cbranch_execnz .LBB58_75
.LBB58_43:                              ;   in Loop: Header=BB58_33 Depth=1
	s_or_b32 exec_lo, exec_lo, s40
	s_and_saveexec_b32 s40, s10
	s_cbranch_execnz .LBB58_76
.LBB58_44:                              ;   in Loop: Header=BB58_33 Depth=1
	s_or_b32 exec_lo, exec_lo, s40
	s_and_saveexec_b32 s40, s11
	s_cbranch_execnz .LBB58_77
.LBB58_45:                              ;   in Loop: Header=BB58_33 Depth=1
	s_or_b32 exec_lo, exec_lo, s40
	s_and_saveexec_b32 s40, s12
	s_cbranch_execnz .LBB58_78
.LBB58_46:                              ;   in Loop: Header=BB58_33 Depth=1
	s_or_b32 exec_lo, exec_lo, s40
	s_and_saveexec_b32 s40, s13
	s_cbranch_execnz .LBB58_79
.LBB58_47:                              ;   in Loop: Header=BB58_33 Depth=1
	s_or_b32 exec_lo, exec_lo, s40
	s_and_saveexec_b32 s40, s14
	s_cbranch_execnz .LBB58_80
.LBB58_48:                              ;   in Loop: Header=BB58_33 Depth=1
	s_or_b32 exec_lo, exec_lo, s40
	s_and_saveexec_b32 s40, s15
	s_cbranch_execnz .LBB58_81
.LBB58_49:                              ;   in Loop: Header=BB58_33 Depth=1
	s_or_b32 exec_lo, exec_lo, s40
	s_and_saveexec_b32 s40, s16
	s_cbranch_execnz .LBB58_82
.LBB58_50:                              ;   in Loop: Header=BB58_33 Depth=1
	s_or_b32 exec_lo, exec_lo, s40
	s_and_saveexec_b32 s40, s17
	s_cbranch_execnz .LBB58_83
.LBB58_51:                              ;   in Loop: Header=BB58_33 Depth=1
	s_or_b32 exec_lo, exec_lo, s40
	s_and_saveexec_b32 s40, s18
	s_cbranch_execnz .LBB58_84
.LBB58_52:                              ;   in Loop: Header=BB58_33 Depth=1
	s_or_b32 exec_lo, exec_lo, s40
	s_and_saveexec_b32 s40, s19
	s_cbranch_execnz .LBB58_85
.LBB58_53:                              ;   in Loop: Header=BB58_33 Depth=1
	s_or_b32 exec_lo, exec_lo, s40
	s_and_saveexec_b32 s40, s20
	s_cbranch_execnz .LBB58_86
.LBB58_54:                              ;   in Loop: Header=BB58_33 Depth=1
	s_or_b32 exec_lo, exec_lo, s40
	s_and_saveexec_b32 s40, s21
	s_cbranch_execnz .LBB58_87
.LBB58_55:                              ;   in Loop: Header=BB58_33 Depth=1
	s_or_b32 exec_lo, exec_lo, s40
	s_and_saveexec_b32 s40, s22
	s_cbranch_execnz .LBB58_88
.LBB58_56:                              ;   in Loop: Header=BB58_33 Depth=1
	s_or_b32 exec_lo, exec_lo, s40
	s_and_saveexec_b32 s40, s23
	s_cbranch_execnz .LBB58_89
.LBB58_57:                              ;   in Loop: Header=BB58_33 Depth=1
	s_or_b32 exec_lo, exec_lo, s40
	s_and_saveexec_b32 s40, s24
	s_cbranch_execnz .LBB58_90
.LBB58_58:                              ;   in Loop: Header=BB58_33 Depth=1
	s_or_b32 exec_lo, exec_lo, s40
	s_and_saveexec_b32 s40, s25
	s_cbranch_execnz .LBB58_91
.LBB58_59:                              ;   in Loop: Header=BB58_33 Depth=1
	s_or_b32 exec_lo, exec_lo, s40
	s_and_saveexec_b32 s40, s26
	s_cbranch_execnz .LBB58_92
.LBB58_60:                              ;   in Loop: Header=BB58_33 Depth=1
	s_or_b32 exec_lo, exec_lo, s40
	s_and_saveexec_b32 s40, s27
	s_cbranch_execnz .LBB58_93
.LBB58_61:                              ;   in Loop: Header=BB58_33 Depth=1
	s_or_b32 exec_lo, exec_lo, s40
	s_and_saveexec_b32 s40, s28
	s_cbranch_execnz .LBB58_94
.LBB58_62:                              ;   in Loop: Header=BB58_33 Depth=1
	s_or_b32 exec_lo, exec_lo, s40
	s_and_saveexec_b32 s40, s29
	s_cbranch_execnz .LBB58_95
.LBB58_63:                              ;   in Loop: Header=BB58_33 Depth=1
	s_or_b32 exec_lo, exec_lo, s40
	s_and_saveexec_b32 s40, s30
	s_cbranch_execnz .LBB58_96
.LBB58_64:                              ;   in Loop: Header=BB58_33 Depth=1
	s_or_b32 exec_lo, exec_lo, s40
	v_ashrrev_i32_e32 v8, 31, v7
	s_and_saveexec_b32 s40, s31
	s_cbranch_execnz .LBB58_97
.LBB58_65:                              ;   in Loop: Header=BB58_33 Depth=1
	s_or_b32 exec_lo, exec_lo, s40
	s_and_saveexec_b32 s31, vcc_lo
	s_cbranch_execz .LBB58_32
	s_branch .LBB58_98
.LBB58_66:                              ;   in Loop: Header=BB58_33 Depth=1
	ds_read_b32 v1, v2 offset:16384
	s_waitcnt lgkmcnt(0)
	v_add_nc_u32_e32 v7, v1, v7
	s_or_b32 exec_lo, exec_lo, s40
	s_and_saveexec_b32 s40, s1
	s_cbranch_execz .LBB58_35
.LBB58_67:                              ;   in Loop: Header=BB58_33 Depth=1
	ds_read_b32 v1, v2 offset:16392
	s_waitcnt lgkmcnt(0)
	v_add_nc_u32_e32 v7, v7, v1
	s_or_b32 exec_lo, exec_lo, s40
	s_and_saveexec_b32 s40, s2
	s_cbranch_execz .LBB58_36
.LBB58_68:                              ;   in Loop: Header=BB58_33 Depth=1
	ds_read_b32 v1, v2 offset:16400
	s_waitcnt lgkmcnt(0)
	v_add_nc_u32_e32 v7, v7, v1
	s_or_b32 exec_lo, exec_lo, s40
	s_and_saveexec_b32 s40, s3
	s_cbranch_execz .LBB58_37
.LBB58_69:                              ;   in Loop: Header=BB58_33 Depth=1
	ds_read_b32 v1, v2 offset:16408
	s_waitcnt lgkmcnt(0)
	v_add_nc_u32_e32 v7, v7, v1
	s_or_b32 exec_lo, exec_lo, s40
	s_and_saveexec_b32 s40, s4
	s_cbranch_execz .LBB58_38
.LBB58_70:                              ;   in Loop: Header=BB58_33 Depth=1
	ds_read_b32 v1, v2 offset:16416
	s_waitcnt lgkmcnt(0)
	v_add_nc_u32_e32 v7, v7, v1
	s_or_b32 exec_lo, exec_lo, s40
	s_and_saveexec_b32 s40, s5
	s_cbranch_execz .LBB58_39
.LBB58_71:                              ;   in Loop: Header=BB58_33 Depth=1
	ds_read_b32 v1, v2 offset:16424
	s_waitcnt lgkmcnt(0)
	v_add_nc_u32_e32 v7, v7, v1
	s_or_b32 exec_lo, exec_lo, s40
	s_and_saveexec_b32 s40, s6
	s_cbranch_execz .LBB58_40
.LBB58_72:                              ;   in Loop: Header=BB58_33 Depth=1
	ds_read_b32 v1, v2 offset:16432
	s_waitcnt lgkmcnt(0)
	v_add_nc_u32_e32 v7, v7, v1
	s_or_b32 exec_lo, exec_lo, s40
	s_and_saveexec_b32 s40, s7
	s_cbranch_execz .LBB58_41
.LBB58_73:                              ;   in Loop: Header=BB58_33 Depth=1
	ds_read_b32 v1, v2 offset:16440
	s_waitcnt lgkmcnt(0)
	v_add_nc_u32_e32 v7, v7, v1
	s_or_b32 exec_lo, exec_lo, s40
	s_and_saveexec_b32 s40, s8
	s_cbranch_execz .LBB58_42
.LBB58_74:                              ;   in Loop: Header=BB58_33 Depth=1
	ds_read_b32 v1, v2 offset:16448
	s_waitcnt lgkmcnt(0)
	v_add_nc_u32_e32 v7, v7, v1
	s_or_b32 exec_lo, exec_lo, s40
	s_and_saveexec_b32 s40, s9
	s_cbranch_execz .LBB58_43
.LBB58_75:                              ;   in Loop: Header=BB58_33 Depth=1
	ds_read_b32 v1, v2 offset:16456
	s_waitcnt lgkmcnt(0)
	v_add_nc_u32_e32 v7, v7, v1
	s_or_b32 exec_lo, exec_lo, s40
	s_and_saveexec_b32 s40, s10
	s_cbranch_execz .LBB58_44
.LBB58_76:                              ;   in Loop: Header=BB58_33 Depth=1
	ds_read_b32 v1, v2 offset:16464
	s_waitcnt lgkmcnt(0)
	v_add_nc_u32_e32 v7, v7, v1
	s_or_b32 exec_lo, exec_lo, s40
	s_and_saveexec_b32 s40, s11
	s_cbranch_execz .LBB58_45
.LBB58_77:                              ;   in Loop: Header=BB58_33 Depth=1
	ds_read_b32 v1, v2 offset:16472
	s_waitcnt lgkmcnt(0)
	v_add_nc_u32_e32 v7, v7, v1
	s_or_b32 exec_lo, exec_lo, s40
	s_and_saveexec_b32 s40, s12
	s_cbranch_execz .LBB58_46
.LBB58_78:                              ;   in Loop: Header=BB58_33 Depth=1
	ds_read_b32 v1, v2 offset:16480
	s_waitcnt lgkmcnt(0)
	v_add_nc_u32_e32 v7, v7, v1
	s_or_b32 exec_lo, exec_lo, s40
	s_and_saveexec_b32 s40, s13
	s_cbranch_execz .LBB58_47
.LBB58_79:                              ;   in Loop: Header=BB58_33 Depth=1
	ds_read_b32 v1, v2 offset:16488
	s_waitcnt lgkmcnt(0)
	v_add_nc_u32_e32 v7, v7, v1
	s_or_b32 exec_lo, exec_lo, s40
	s_and_saveexec_b32 s40, s14
	s_cbranch_execz .LBB58_48
.LBB58_80:                              ;   in Loop: Header=BB58_33 Depth=1
	ds_read_b32 v1, v2 offset:16496
	s_waitcnt lgkmcnt(0)
	v_add_nc_u32_e32 v7, v7, v1
	s_or_b32 exec_lo, exec_lo, s40
	s_and_saveexec_b32 s40, s15
	s_cbranch_execz .LBB58_49
.LBB58_81:                              ;   in Loop: Header=BB58_33 Depth=1
	ds_read_b32 v1, v2 offset:16504
	s_waitcnt lgkmcnt(0)
	v_add_nc_u32_e32 v7, v7, v1
	s_or_b32 exec_lo, exec_lo, s40
	s_and_saveexec_b32 s40, s16
	s_cbranch_execz .LBB58_50
.LBB58_82:                              ;   in Loop: Header=BB58_33 Depth=1
	ds_read_b32 v1, v2 offset:16512
	s_waitcnt lgkmcnt(0)
	v_add_nc_u32_e32 v7, v7, v1
	s_or_b32 exec_lo, exec_lo, s40
	s_and_saveexec_b32 s40, s17
	s_cbranch_execz .LBB58_51
.LBB58_83:                              ;   in Loop: Header=BB58_33 Depth=1
	ds_read_b32 v1, v2 offset:16520
	s_waitcnt lgkmcnt(0)
	v_add_nc_u32_e32 v7, v7, v1
	s_or_b32 exec_lo, exec_lo, s40
	s_and_saveexec_b32 s40, s18
	s_cbranch_execz .LBB58_52
.LBB58_84:                              ;   in Loop: Header=BB58_33 Depth=1
	ds_read_b32 v1, v2 offset:16528
	s_waitcnt lgkmcnt(0)
	v_add_nc_u32_e32 v7, v7, v1
	s_or_b32 exec_lo, exec_lo, s40
	s_and_saveexec_b32 s40, s19
	s_cbranch_execz .LBB58_53
.LBB58_85:                              ;   in Loop: Header=BB58_33 Depth=1
	ds_read_b32 v1, v2 offset:16536
	s_waitcnt lgkmcnt(0)
	v_add_nc_u32_e32 v7, v7, v1
	s_or_b32 exec_lo, exec_lo, s40
	s_and_saveexec_b32 s40, s20
	s_cbranch_execz .LBB58_54
.LBB58_86:                              ;   in Loop: Header=BB58_33 Depth=1
	ds_read_b32 v1, v2 offset:16544
	s_waitcnt lgkmcnt(0)
	v_add_nc_u32_e32 v7, v7, v1
	s_or_b32 exec_lo, exec_lo, s40
	s_and_saveexec_b32 s40, s21
	s_cbranch_execz .LBB58_55
.LBB58_87:                              ;   in Loop: Header=BB58_33 Depth=1
	ds_read_b32 v1, v2 offset:16552
	s_waitcnt lgkmcnt(0)
	v_add_nc_u32_e32 v7, v7, v1
	s_or_b32 exec_lo, exec_lo, s40
	s_and_saveexec_b32 s40, s22
	s_cbranch_execz .LBB58_56
.LBB58_88:                              ;   in Loop: Header=BB58_33 Depth=1
	ds_read_b32 v1, v2 offset:16560
	s_waitcnt lgkmcnt(0)
	v_add_nc_u32_e32 v7, v7, v1
	s_or_b32 exec_lo, exec_lo, s40
	s_and_saveexec_b32 s40, s23
	s_cbranch_execz .LBB58_57
.LBB58_89:                              ;   in Loop: Header=BB58_33 Depth=1
	ds_read_b32 v1, v2 offset:16568
	s_waitcnt lgkmcnt(0)
	v_add_nc_u32_e32 v7, v7, v1
	s_or_b32 exec_lo, exec_lo, s40
	s_and_saveexec_b32 s40, s24
	s_cbranch_execz .LBB58_58
.LBB58_90:                              ;   in Loop: Header=BB58_33 Depth=1
	ds_read_b32 v1, v2 offset:16576
	s_waitcnt lgkmcnt(0)
	v_add_nc_u32_e32 v7, v7, v1
	s_or_b32 exec_lo, exec_lo, s40
	s_and_saveexec_b32 s40, s25
	s_cbranch_execz .LBB58_59
.LBB58_91:                              ;   in Loop: Header=BB58_33 Depth=1
	ds_read_b32 v1, v2 offset:16584
	s_waitcnt lgkmcnt(0)
	v_add_nc_u32_e32 v7, v7, v1
	s_or_b32 exec_lo, exec_lo, s40
	s_and_saveexec_b32 s40, s26
	s_cbranch_execz .LBB58_60
.LBB58_92:                              ;   in Loop: Header=BB58_33 Depth=1
	ds_read_b32 v1, v2 offset:16592
	s_waitcnt lgkmcnt(0)
	v_add_nc_u32_e32 v7, v7, v1
	s_or_b32 exec_lo, exec_lo, s40
	s_and_saveexec_b32 s40, s27
	s_cbranch_execz .LBB58_61
.LBB58_93:                              ;   in Loop: Header=BB58_33 Depth=1
	ds_read_b32 v1, v2 offset:16600
	s_waitcnt lgkmcnt(0)
	v_add_nc_u32_e32 v7, v7, v1
	s_or_b32 exec_lo, exec_lo, s40
	s_and_saveexec_b32 s40, s28
	s_cbranch_execz .LBB58_62
.LBB58_94:                              ;   in Loop: Header=BB58_33 Depth=1
	ds_read_b32 v1, v2 offset:16608
	s_waitcnt lgkmcnt(0)
	v_add_nc_u32_e32 v7, v7, v1
	s_or_b32 exec_lo, exec_lo, s40
	s_and_saveexec_b32 s40, s29
	s_cbranch_execz .LBB58_63
.LBB58_95:                              ;   in Loop: Header=BB58_33 Depth=1
	ds_read_b32 v1, v2 offset:16616
	s_waitcnt lgkmcnt(0)
	v_add_nc_u32_e32 v7, v7, v1
	s_or_b32 exec_lo, exec_lo, s40
	s_and_saveexec_b32 s40, s30
	s_cbranch_execz .LBB58_64
.LBB58_96:                              ;   in Loop: Header=BB58_33 Depth=1
	ds_read_b32 v1, v2 offset:16624
	s_waitcnt lgkmcnt(0)
	v_add_nc_u32_e32 v7, v7, v1
	s_or_b32 exec_lo, exec_lo, s40
	v_ashrrev_i32_e32 v8, 31, v7
	s_and_saveexec_b32 s40, s31
	s_cbranch_execz .LBB58_65
.LBB58_97:                              ;   in Loop: Header=BB58_33 Depth=1
	v_lshlrev_b32_e32 v1, 3, v3
	v_lshlrev_b32_e32 v13, 3, v7
	v_add_nc_u32_e32 v1, 0, v1
	v_add3_u32 v1, v1, v13, -8
	ds_write_b64 v1, v[5:6]
	s_or_b32 exec_lo, exec_lo, s40
	s_and_saveexec_b32 s31, vcc_lo
	s_cbranch_execz .LBB58_32
.LBB58_98:                              ;   in Loop: Header=BB58_33 Depth=1
	ds_write_b64 v2, v[7:8] offset:16632
	s_branch .LBB58_32
.LBB58_99:
	s_or_b32 exec_lo, exec_lo, s33
	s_lshl_b64 s[0:1], s[38:39], 3
	v_mov_b32_e32 v1, 0
	s_add_u32 s0, s50, s0
	s_addc_u32 s1, s51, s1
	s_mov_b32 s6, exec_lo
	s_load_dwordx4 s[0:3], s[0:1], 0x0
	s_waitcnt lgkmcnt(0)
	s_sub_u32 s4, s2, s0
	s_subb_u32 s5, s3, s1
	v_cmpx_gt_i64_e64 s[4:5], v[0:1]
	s_cbranch_execz .LBB58_109
; %bb.100:
	s_sub_u32 s8, s0, s46
	s_subb_u32 s9, s1, 0
	s_and_b32 s6, s4, 7
	s_sub_u32 s0, s0, s2
	s_subb_u32 s1, s1, s3
	s_mov_b32 s7, 0
	v_cmp_lt_u64_e64 s12, s[0:1], -7
	s_and_b32 s2, s4, -8
	s_cmp_lg_u64 s[6:7], 0
	s_mov_b32 s3, s5
	s_cselect_b32 s13, -1, 0
	s_mov_b32 s14, s7
	s_branch .LBB58_102
.LBB58_101:                             ;   in Loop: Header=BB58_102 Depth=1
	v_add_co_u32 v0, vcc_lo, 0x400, v0
	v_lshlrev_b64 v[4:5], 3, v[4:5]
	v_add_co_ci_u32_e64 v1, null, 0, v1, vcc_lo
	s_waitcnt lgkmcnt(0)
	v_add_co_u32 v2, vcc_lo, v2, s46
	v_add_co_ci_u32_e64 v3, null, 0, v3, vcc_lo
	v_cmp_le_i64_e32 vcc_lo, s[4:5], v[0:1]
	v_add_co_u32 v4, s0, s34, v4
	v_add_co_ci_u32_e64 v5, null, s35, v5, s0
	s_or_b32 s14, vcc_lo, s14
	global_store_dwordx2 v[4:5], v[2:3], off
	s_andn2_b32 exec_lo, exec_lo, s14
	s_cbranch_execz .LBB58_109
.LBB58_102:                             ; =>This Loop Header: Depth=1
                                        ;     Child Loop BB58_104 Depth 2
                                        ;     Child Loop BB58_108 Depth 2
	v_lshl_add_u32 v2, v0, 3, 0
	v_mov_b32_e32 v4, s8
	v_mov_b32_e32 v5, s9
	s_andn2_b32 vcc_lo, exec_lo, s12
	s_mov_b64 s[0:1], 0
	ds_read_b64 v[2:3], v2
	s_cbranch_vccnz .LBB58_106
; %bb.103:                              ;   in Loop: Header=BB58_102 Depth=1
	v_mov_b32_e32 v4, s8
	v_mov_b32_e32 v5, s9
	s_mov_b64 s[10:11], 0
	s_mov_b32 s1, 0
.LBB58_104:                             ;   Parent Loop BB58_102 Depth=1
                                        ; =>  This Inner Loop Header: Depth=2
	v_mov_b32_e32 v18, s1
	s_add_u32 s10, s10, 8
	s_addc_u32 s11, s11, 0
	s_add_i32 s1, s1, 64
	s_cmp_eq_u64 s[2:3], s[10:11]
	ds_read2_b64 v[6:9], v18 offset1:1
	ds_read2_b64 v[10:13], v18 offset0:2 offset1:3
	ds_read2_b64 v[14:17], v18 offset0:4 offset1:5
	;; [unrolled: 1-line block ×3, first 2 shown]
	s_waitcnt lgkmcnt(3)
	v_cmp_gt_i64_e32 vcc_lo, v[2:3], v[6:7]
	v_cndmask_b32_e64 v6, 0, 1, vcc_lo
	v_cmp_gt_i64_e32 vcc_lo, v[2:3], v[8:9]
	v_cndmask_b32_e64 v7, 0, 1, vcc_lo
	s_waitcnt lgkmcnt(2)
	v_cmp_gt_i64_e32 vcc_lo, v[2:3], v[10:11]
	v_cndmask_b32_e64 v8, 0, 1, vcc_lo
	v_cmp_gt_i64_e32 vcc_lo, v[2:3], v[12:13]
	v_cndmask_b32_e64 v9, 0, 1, vcc_lo
	s_waitcnt lgkmcnt(1)
	v_cmp_gt_i64_e32 vcc_lo, v[2:3], v[14:15]
	v_cndmask_b32_e64 v10, 0, 1, vcc_lo
	v_add_co_u32 v4, vcc_lo, v4, v6
	v_add_co_ci_u32_e64 v5, null, 0, v5, vcc_lo
	v_cmp_gt_i64_e32 vcc_lo, v[2:3], v[16:17]
	v_add_co_u32 v4, s0, v4, v7
	v_add_co_ci_u32_e64 v5, null, 0, v5, s0
	v_cndmask_b32_e64 v6, 0, 1, vcc_lo
	v_add_co_u32 v4, vcc_lo, v4, v8
	v_add_co_ci_u32_e64 v5, null, 0, v5, vcc_lo
	s_waitcnt lgkmcnt(0)
	v_cmp_gt_i64_e32 vcc_lo, v[2:3], v[18:19]
	v_add_co_u32 v4, s0, v4, v9
	v_add_co_ci_u32_e64 v5, null, 0, v5, s0
	v_cndmask_b32_e64 v7, 0, 1, vcc_lo
	v_add_co_u32 v4, vcc_lo, v4, v10
	v_add_co_ci_u32_e64 v5, null, 0, v5, vcc_lo
	v_cmp_gt_i64_e32 vcc_lo, v[2:3], v[20:21]
	v_add_co_u32 v4, s0, v4, v6
	v_add_co_ci_u32_e64 v5, null, 0, v5, s0
	v_cndmask_b32_e64 v6, 0, 1, vcc_lo
	v_add_co_u32 v4, vcc_lo, v4, v7
	v_add_co_ci_u32_e64 v5, null, 0, v5, vcc_lo
	v_add_co_u32 v4, vcc_lo, v4, v6
	v_add_co_ci_u32_e64 v5, null, 0, v5, vcc_lo
	s_cbranch_scc0 .LBB58_104
; %bb.105:                              ;   in Loop: Header=BB58_102 Depth=1
	s_mov_b64 s[0:1], s[2:3]
.LBB58_106:                             ;   in Loop: Header=BB58_102 Depth=1
	s_andn2_b32 vcc_lo, exec_lo, s13
	s_cbranch_vccnz .LBB58_101
; %bb.107:                              ;   in Loop: Header=BB58_102 Depth=1
	s_lshl_b32 s0, s0, 3
	s_add_i32 s10, s0, 0
	s_mov_b64 s[0:1], s[6:7]
.LBB58_108:                             ;   Parent Loop BB58_102 Depth=1
                                        ; =>  This Inner Loop Header: Depth=2
	v_mov_b32_e32 v6, s10
	s_add_i32 s10, s10, 8
	s_add_u32 s0, s0, -1
	s_addc_u32 s1, s1, -1
	s_cmp_lg_u64 s[0:1], 0
	ds_read_b64 v[6:7], v6
	s_waitcnt lgkmcnt(0)
	v_cmp_gt_i64_e32 vcc_lo, v[2:3], v[6:7]
	v_cndmask_b32_e64 v6, 0, 1, vcc_lo
	v_add_co_u32 v4, vcc_lo, v4, v6
	v_add_co_ci_u32_e64 v5, null, 0, v5, vcc_lo
	s_cbranch_scc1 .LBB58_108
	s_branch .LBB58_101
.LBB58_109:
	s_endpgm
	.section	.rodata,"a",@progbits
	.p2align	6, 0x0
	.amdhsa_kernel _ZN9rocsparseL35csrgemm_symbolic_fill_block_per_rowILj1024ELj32ELj2048ELj137ELj32EllEEvT5_PKS1_S3_PKT4_S3_S6_S3_S6_S3_S6_PS1_21rocsparse_index_base_S8_S8_S8_bb
		.amdhsa_group_segment_fixed_size 0
		.amdhsa_private_segment_fixed_size 0
		.amdhsa_kernarg_size 108
		.amdhsa_user_sgpr_count 6
		.amdhsa_user_sgpr_private_segment_buffer 1
		.amdhsa_user_sgpr_dispatch_ptr 0
		.amdhsa_user_sgpr_queue_ptr 0
		.amdhsa_user_sgpr_kernarg_segment_ptr 1
		.amdhsa_user_sgpr_dispatch_id 0
		.amdhsa_user_sgpr_flat_scratch_init 0
		.amdhsa_user_sgpr_private_segment_size 0
		.amdhsa_wavefront_size32 1
		.amdhsa_uses_dynamic_stack 0
		.amdhsa_system_sgpr_private_segment_wavefront_offset 0
		.amdhsa_system_sgpr_workgroup_id_x 1
		.amdhsa_system_sgpr_workgroup_id_y 0
		.amdhsa_system_sgpr_workgroup_id_z 0
		.amdhsa_system_sgpr_workgroup_info 0
		.amdhsa_system_vgpr_workitem_id 0
		.amdhsa_next_free_vgpr 22
		.amdhsa_next_free_sgpr 52
		.amdhsa_reserve_vcc 1
		.amdhsa_reserve_flat_scratch 0
		.amdhsa_float_round_mode_32 0
		.amdhsa_float_round_mode_16_64 0
		.amdhsa_float_denorm_mode_32 3
		.amdhsa_float_denorm_mode_16_64 3
		.amdhsa_dx10_clamp 1
		.amdhsa_ieee_mode 1
		.amdhsa_fp16_overflow 0
		.amdhsa_workgroup_processor_mode 1
		.amdhsa_memory_ordered 1
		.amdhsa_forward_progress 1
		.amdhsa_shared_vgpr_count 0
		.amdhsa_exception_fp_ieee_invalid_op 0
		.amdhsa_exception_fp_denorm_src 0
		.amdhsa_exception_fp_ieee_div_zero 0
		.amdhsa_exception_fp_ieee_overflow 0
		.amdhsa_exception_fp_ieee_underflow 0
		.amdhsa_exception_fp_ieee_inexact 0
		.amdhsa_exception_int_div_zero 0
	.end_amdhsa_kernel
	.section	.text._ZN9rocsparseL35csrgemm_symbolic_fill_block_per_rowILj1024ELj32ELj2048ELj137ELj32EllEEvT5_PKS1_S3_PKT4_S3_S6_S3_S6_S3_S6_PS1_21rocsparse_index_base_S8_S8_S8_bb,"axG",@progbits,_ZN9rocsparseL35csrgemm_symbolic_fill_block_per_rowILj1024ELj32ELj2048ELj137ELj32EllEEvT5_PKS1_S3_PKT4_S3_S6_S3_S6_S3_S6_PS1_21rocsparse_index_base_S8_S8_S8_bb,comdat
.Lfunc_end58:
	.size	_ZN9rocsparseL35csrgemm_symbolic_fill_block_per_rowILj1024ELj32ELj2048ELj137ELj32EllEEvT5_PKS1_S3_PKT4_S3_S6_S3_S6_S3_S6_PS1_21rocsparse_index_base_S8_S8_S8_bb, .Lfunc_end58-_ZN9rocsparseL35csrgemm_symbolic_fill_block_per_rowILj1024ELj32ELj2048ELj137ELj32EllEEvT5_PKS1_S3_PKT4_S3_S6_S3_S6_S3_S6_PS1_21rocsparse_index_base_S8_S8_S8_bb
                                        ; -- End function
	.set _ZN9rocsparseL35csrgemm_symbolic_fill_block_per_rowILj1024ELj32ELj2048ELj137ELj32EllEEvT5_PKS1_S3_PKT4_S3_S6_S3_S6_S3_S6_PS1_21rocsparse_index_base_S8_S8_S8_bb.num_vgpr, 22
	.set _ZN9rocsparseL35csrgemm_symbolic_fill_block_per_rowILj1024ELj32ELj2048ELj137ELj32EllEEvT5_PKS1_S3_PKT4_S3_S6_S3_S6_S3_S6_PS1_21rocsparse_index_base_S8_S8_S8_bb.num_agpr, 0
	.set _ZN9rocsparseL35csrgemm_symbolic_fill_block_per_rowILj1024ELj32ELj2048ELj137ELj32EllEEvT5_PKS1_S3_PKT4_S3_S6_S3_S6_S3_S6_PS1_21rocsparse_index_base_S8_S8_S8_bb.numbered_sgpr, 52
	.set _ZN9rocsparseL35csrgemm_symbolic_fill_block_per_rowILj1024ELj32ELj2048ELj137ELj32EllEEvT5_PKS1_S3_PKT4_S3_S6_S3_S6_S3_S6_PS1_21rocsparse_index_base_S8_S8_S8_bb.num_named_barrier, 0
	.set _ZN9rocsparseL35csrgemm_symbolic_fill_block_per_rowILj1024ELj32ELj2048ELj137ELj32EllEEvT5_PKS1_S3_PKT4_S3_S6_S3_S6_S3_S6_PS1_21rocsparse_index_base_S8_S8_S8_bb.private_seg_size, 0
	.set _ZN9rocsparseL35csrgemm_symbolic_fill_block_per_rowILj1024ELj32ELj2048ELj137ELj32EllEEvT5_PKS1_S3_PKT4_S3_S6_S3_S6_S3_S6_PS1_21rocsparse_index_base_S8_S8_S8_bb.uses_vcc, 1
	.set _ZN9rocsparseL35csrgemm_symbolic_fill_block_per_rowILj1024ELj32ELj2048ELj137ELj32EllEEvT5_PKS1_S3_PKT4_S3_S6_S3_S6_S3_S6_PS1_21rocsparse_index_base_S8_S8_S8_bb.uses_flat_scratch, 0
	.set _ZN9rocsparseL35csrgemm_symbolic_fill_block_per_rowILj1024ELj32ELj2048ELj137ELj32EllEEvT5_PKS1_S3_PKT4_S3_S6_S3_S6_S3_S6_PS1_21rocsparse_index_base_S8_S8_S8_bb.has_dyn_sized_stack, 0
	.set _ZN9rocsparseL35csrgemm_symbolic_fill_block_per_rowILj1024ELj32ELj2048ELj137ELj32EllEEvT5_PKS1_S3_PKT4_S3_S6_S3_S6_S3_S6_PS1_21rocsparse_index_base_S8_S8_S8_bb.has_recursion, 0
	.set _ZN9rocsparseL35csrgemm_symbolic_fill_block_per_rowILj1024ELj32ELj2048ELj137ELj32EllEEvT5_PKS1_S3_PKT4_S3_S6_S3_S6_S3_S6_PS1_21rocsparse_index_base_S8_S8_S8_bb.has_indirect_call, 0
	.section	.AMDGPU.csdata,"",@progbits
; Kernel info:
; codeLenInByte = 3880
; TotalNumSgprs: 54
; NumVgprs: 22
; ScratchSize: 0
; MemoryBound: 0
; FloatMode: 240
; IeeeMode: 1
; LDSByteSize: 0 bytes/workgroup (compile time only)
; SGPRBlocks: 0
; VGPRBlocks: 2
; NumSGPRsForWavesPerEU: 54
; NumVGPRsForWavesPerEU: 22
; Occupancy: 16
; WaveLimiterHint : 1
; COMPUTE_PGM_RSRC2:SCRATCH_EN: 0
; COMPUTE_PGM_RSRC2:USER_SGPR: 6
; COMPUTE_PGM_RSRC2:TRAP_HANDLER: 0
; COMPUTE_PGM_RSRC2:TGID_X_EN: 1
; COMPUTE_PGM_RSRC2:TGID_Y_EN: 0
; COMPUTE_PGM_RSRC2:TGID_Z_EN: 0
; COMPUTE_PGM_RSRC2:TIDIG_COMP_CNT: 0
	.section	.text._ZN9rocsparseL35csrgemm_symbolic_fill_block_per_rowILj1024ELj32ELj2048ELj137ELj64EllEEvT5_PKS1_S3_PKT4_S3_S6_S3_S6_S3_S6_PS1_21rocsparse_index_base_S8_S8_S8_bb,"axG",@progbits,_ZN9rocsparseL35csrgemm_symbolic_fill_block_per_rowILj1024ELj32ELj2048ELj137ELj64EllEEvT5_PKS1_S3_PKT4_S3_S6_S3_S6_S3_S6_PS1_21rocsparse_index_base_S8_S8_S8_bb,comdat
	.globl	_ZN9rocsparseL35csrgemm_symbolic_fill_block_per_rowILj1024ELj32ELj2048ELj137ELj64EllEEvT5_PKS1_S3_PKT4_S3_S6_S3_S6_S3_S6_PS1_21rocsparse_index_base_S8_S8_S8_bb ; -- Begin function _ZN9rocsparseL35csrgemm_symbolic_fill_block_per_rowILj1024ELj32ELj2048ELj137ELj64EllEEvT5_PKS1_S3_PKT4_S3_S6_S3_S6_S3_S6_PS1_21rocsparse_index_base_S8_S8_S8_bb
	.p2align	8
	.type	_ZN9rocsparseL35csrgemm_symbolic_fill_block_per_rowILj1024ELj32ELj2048ELj137ELj64EllEEvT5_PKS1_S3_PKT4_S3_S6_S3_S6_S3_S6_PS1_21rocsparse_index_base_S8_S8_S8_bb,@function
_ZN9rocsparseL35csrgemm_symbolic_fill_block_per_rowILj1024ELj32ELj2048ELj137ELj64EllEEvT5_PKS1_S3_PKT4_S3_S6_S3_S6_S3_S6_PS1_21rocsparse_index_base_S8_S8_S8_bb: ; @_ZN9rocsparseL35csrgemm_symbolic_fill_block_per_rowILj1024ELj32ELj2048ELj137ELj64EllEEvT5_PKS1_S3_PKT4_S3_S6_S3_S6_S3_S6_PS1_21rocsparse_index_base_S8_S8_S8_bb
; %bb.0:
	s_clause 0x3
	s_load_dwordx8 s[16:23], s[4:5], 0x0
	s_load_dwordx2 s[34:35], s[4:5], 0x50
	s_load_dwordx4 s[28:31], s[4:5], 0x40
	s_load_dwordx8 s[8:15], s[4:5], 0x20
	v_lshl_add_u32 v11, v0, 3, 0
	v_or_b32_e32 v12, 0xfffffc00, v0
	s_mov_b32 s0, 0
	v_mov_b32_e32 v3, v11
	v_mov_b32_e32 v4, v12
	s_waitcnt lgkmcnt(0)
	v_mov_b32_e32 v1, s16
	v_mov_b32_e32 v2, s17
.LBB59_1:                               ; =>This Inner Loop Header: Depth=1
	v_add_co_u32 v4, s1, 0x400, v4
	s_xor_b32 s1, s1, -1
	ds_write_b64 v3, v[1:2]
	v_add_nc_u32_e32 v3, 0x2000, v3
	s_and_b32 s1, exec_lo, s1
	s_or_b32 s0, s1, s0
	s_andn2_b32 exec_lo, exec_lo, s0
	s_cbranch_execnz .LBB59_1
; %bb.2:
	s_or_b32 exec_lo, exec_lo, s0
	s_load_dword s2, s[4:5], 0x68
	s_waitcnt lgkmcnt(0)
	s_barrier
	buffer_gl0_inv
	s_load_dwordx2 s[0:1], s[18:19], 0x0
	s_mov_b32 s7, 0
	s_bitcmp1_b32 s2, 0
	s_cselect_b32 s3, -1, 0
	s_waitcnt lgkmcnt(0)
	s_lshl_b64 s[0:1], s[0:1], 3
	s_add_u32 s18, s20, s0
	s_addc_u32 s19, s21, s1
	s_lshl_b64 s[0:1], s[6:7], 3
	s_add_u32 s0, s18, s0
	s_addc_u32 s1, s19, s1
	s_load_dwordx4 s[24:27], s[4:5], 0x58
	s_load_dwordx2 s[18:19], s[0:1], 0x0
	s_and_b32 vcc_lo, exec_lo, s3
	s_cbranch_vccz .LBB59_18
; %bb.3:
	s_waitcnt lgkmcnt(0)
	s_lshl_b64 s[0:1], s[18:19], 3
	v_lshrrev_b32_e32 v1, 5, v0
	s_add_u32 s0, s22, s0
	s_addc_u32 s1, s23, s1
	s_mov_b32 s3, exec_lo
	s_load_dwordx4 s[4:7], s[0:1], 0x0
	v_sub_co_u32 v1, s0, v1, s24
	v_sub_co_ci_u32_e64 v2, null, 0, 0, s0
	s_waitcnt lgkmcnt(0)
	v_add_co_u32 v1, vcc_lo, s4, v1
	v_add_co_ci_u32_e64 v2, null, s5, v2, vcc_lo
	s_sub_u32 s0, s6, s24
	s_subb_u32 s1, s7, 0
	v_cmpx_gt_i64_e64 s[0:1], v[1:2]
	s_cbranch_execz .LBB59_17
; %bb.4:
	v_and_b32_e32 v3, 31, v0
	s_mov_b32 s5, s25
	v_sub_co_u32 v13, s4, v3, s25
	v_sub_co_ci_u32_e64 v14, null, 0, 0, s4
	s_mov_b32 s4, 0
	s_branch .LBB59_6
.LBB59_5:                               ;   in Loop: Header=BB59_6 Depth=1
	s_or_b32 exec_lo, exec_lo, s6
	v_add_co_u32 v1, vcc_lo, v1, 32
	v_add_co_ci_u32_e64 v2, null, 0, v2, vcc_lo
	v_cmp_le_i64_e32 vcc_lo, s[0:1], v[1:2]
	s_or_b32 s4, vcc_lo, s4
	s_andn2_b32 exec_lo, exec_lo, s4
	s_cbranch_execz .LBB59_17
.LBB59_6:                               ; =>This Loop Header: Depth=1
                                        ;     Child Loop BB59_9 Depth 2
                                        ;       Child Loop BB59_12 Depth 3
	v_lshlrev_b64 v[3:4], 3, v[1:2]
	s_mov_b32 s6, exec_lo
	v_add_co_u32 v3, vcc_lo, s8, v3
	v_add_co_ci_u32_e64 v4, null, s9, v4, vcc_lo
	global_load_dwordx2 v[3:4], v[3:4], off
	s_waitcnt vmcnt(0)
	v_sub_co_u32 v3, vcc_lo, v3, s24
	v_subrev_co_ci_u32_e64 v4, null, 0, v4, vcc_lo
	v_lshlrev_b64 v[3:4], 3, v[3:4]
	v_add_co_u32 v3, vcc_lo, s10, v3
	v_add_co_ci_u32_e64 v4, null, s11, v4, vcc_lo
	global_load_dwordx4 v[5:8], v[3:4], off
	s_waitcnt vmcnt(0)
	v_sub_co_u32 v3, vcc_lo, v7, s5
	v_subrev_co_ci_u32_e64 v4, null, 0, v8, vcc_lo
	v_add_co_u32 v5, vcc_lo, v5, v13
	v_add_co_ci_u32_e64 v6, null, v6, v14, vcc_lo
	v_cmpx_lt_i64_e64 v[5:6], v[3:4]
	s_cbranch_execz .LBB59_5
; %bb.7:                                ;   in Loop: Header=BB59_6 Depth=1
	s_mov_b32 s7, 0
	s_branch .LBB59_9
.LBB59_8:                               ;   in Loop: Header=BB59_9 Depth=2
	s_inst_prefetch 0x2
	s_or_b32 exec_lo, exec_lo, s20
	v_add_co_u32 v5, vcc_lo, v5, 32
	v_add_co_ci_u32_e64 v6, null, 0, v6, vcc_lo
	v_cmp_ge_i64_e32 vcc_lo, v[5:6], v[3:4]
	s_or_b32 s7, vcc_lo, s7
	s_andn2_b32 exec_lo, exec_lo, s7
	s_cbranch_execz .LBB59_5
.LBB59_9:                               ;   Parent Loop BB59_6 Depth=1
                                        ; =>  This Loop Header: Depth=2
                                        ;       Child Loop BB59_12 Depth 3
	v_lshlrev_b64 v[7:8], 3, v[5:6]
	s_mov_b32 s20, 0
                                        ; implicit-def: $sgpr21
	v_add_co_u32 v7, vcc_lo, s12, v7
	v_add_co_ci_u32_e64 v8, null, s13, v8, vcc_lo
	global_load_dwordx2 v[7:8], v[7:8], off
	s_waitcnt vmcnt(0)
	v_sub_co_u32 v7, vcc_lo, v7, s5
	v_subrev_co_ci_u32_e64 v8, null, 0, v8, vcc_lo
	v_mul_lo_u32 v9, 0x89, v7
	v_and_b32_e32 v15, 0x7ff, v9
	s_inst_prefetch 0x1
	s_branch .LBB59_12
	.p2align	6
.LBB59_10:                              ;   in Loop: Header=BB59_12 Depth=3
	s_or_b32 exec_lo, exec_lo, s23
	s_andn2_b32 s21, s21, exec_lo
	s_and_b32 s23, s25, exec_lo
	s_or_b32 s21, s21, s23
.LBB59_11:                              ;   in Loop: Header=BB59_12 Depth=3
	s_or_b32 exec_lo, exec_lo, s22
	s_xor_b32 s22, s21, -1
	s_and_b32 s22, exec_lo, s22
	s_or_b32 s20, s22, s20
	s_andn2_b32 exec_lo, exec_lo, s20
	s_cbranch_execz .LBB59_8
.LBB59_12:                              ;   Parent Loop BB59_6 Depth=1
                                        ;     Parent Loop BB59_9 Depth=2
                                        ; =>    This Inner Loop Header: Depth=3
	v_lshl_add_u32 v16, v15, 3, 0
	s_andn2_b32 s21, s21, exec_lo
	s_mov_b32 s22, exec_lo
	ds_read_b64 v[9:10], v16
	s_waitcnt lgkmcnt(0)
	v_cmpx_ne_u64_e64 v[9:10], v[7:8]
	s_cbranch_execz .LBB59_11
; %bb.13:                               ;   in Loop: Header=BB59_12 Depth=3
	s_mov_b32 s23, exec_lo
	v_cmpx_ne_u64_e64 s[16:17], v[9:10]
	s_xor_b32 s23, exec_lo, s23
; %bb.14:                               ;   in Loop: Header=BB59_12 Depth=3
	v_add_nc_u32_e32 v9, 1, v15
                                        ; implicit-def: $vgpr16
	v_and_b32_e32 v15, 0x7ff, v9
; %bb.15:                               ;   in Loop: Header=BB59_12 Depth=3
	s_or_saveexec_b32 s23, s23
	s_mov_b32 s25, -1
	s_xor_b32 exec_lo, exec_lo, s23
	s_cbranch_execz .LBB59_10
; %bb.16:                               ;   in Loop: Header=BB59_12 Depth=3
	v_mov_b32_e32 v9, s16
	v_mov_b32_e32 v10, s17
	ds_cmpst_rtn_b64 v[9:10], v16, v[9:10], v[7:8]
	s_waitcnt lgkmcnt(0)
	v_cmp_ne_u64_e32 vcc_lo, s[16:17], v[9:10]
	s_orn2_b32 s25, vcc_lo, exec_lo
	s_branch .LBB59_10
.LBB59_17:
	s_or_b32 exec_lo, exec_lo, s3
.LBB59_18:
	s_bfe_u32 s0, s2, 0x10008
	s_cmp_eq_u32 s0, 0
	s_cbranch_scc1 .LBB59_31
; %bb.19:
	s_waitcnt lgkmcnt(0)
	s_lshl_b64 s[0:1], s[18:19], 3
	v_sub_co_u32 v1, s4, v0, s27
	s_add_u32 s0, s14, s0
	s_addc_u32 s1, s15, s1
	v_sub_co_ci_u32_e64 v2, null, 0, 0, s4
	s_load_dwordx4 s[0:3], s[0:1], 0x0
	s_waitcnt lgkmcnt(0)
	v_add_co_u32 v1, vcc_lo, s0, v1
	v_add_co_ci_u32_e64 v2, null, s1, v2, vcc_lo
	s_sub_u32 s0, s2, s27
	s_subb_u32 s1, s3, 0
	s_mov_b32 s2, 0
	s_mov_b32 s3, exec_lo
	v_cmpx_gt_i64_e64 s[0:1], v[1:2]
	s_cbranch_execz .LBB59_30
; %bb.20:
	s_mov_b32 s4, s27
	s_branch .LBB59_22
.LBB59_21:                              ;   in Loop: Header=BB59_22 Depth=1
	s_inst_prefetch 0x2
	s_or_b32 exec_lo, exec_lo, s5
	v_add_co_u32 v1, vcc_lo, 0x400, v1
	v_add_co_ci_u32_e64 v2, null, 0, v2, vcc_lo
	v_cmp_le_i64_e32 vcc_lo, s[0:1], v[1:2]
	s_or_b32 s2, vcc_lo, s2
	s_andn2_b32 exec_lo, exec_lo, s2
	s_cbranch_execz .LBB59_30
.LBB59_22:                              ; =>This Loop Header: Depth=1
                                        ;     Child Loop BB59_25 Depth 2
	v_lshlrev_b64 v[3:4], 3, v[1:2]
	s_mov_b32 s5, 0
                                        ; implicit-def: $sgpr6
	v_add_co_u32 v3, vcc_lo, s28, v3
	v_add_co_ci_u32_e64 v4, null, s29, v4, vcc_lo
	global_load_dwordx2 v[3:4], v[3:4], off
	s_waitcnt vmcnt(0)
	v_sub_co_u32 v3, vcc_lo, v3, s4
	v_subrev_co_ci_u32_e64 v4, null, 0, v4, vcc_lo
	v_mul_lo_u32 v5, 0x89, v3
	v_and_b32_e32 v7, 0x7ff, v5
	s_inst_prefetch 0x1
	s_branch .LBB59_25
	.p2align	6
.LBB59_23:                              ;   in Loop: Header=BB59_25 Depth=2
	s_or_b32 exec_lo, exec_lo, s8
	s_andn2_b32 s6, s6, exec_lo
	s_and_b32 s8, s9, exec_lo
	s_or_b32 s6, s6, s8
.LBB59_24:                              ;   in Loop: Header=BB59_25 Depth=2
	s_or_b32 exec_lo, exec_lo, s7
	s_xor_b32 s7, s6, -1
	s_and_b32 s7, exec_lo, s7
	s_or_b32 s5, s7, s5
	s_andn2_b32 exec_lo, exec_lo, s5
	s_cbranch_execz .LBB59_21
.LBB59_25:                              ;   Parent Loop BB59_22 Depth=1
                                        ; =>  This Inner Loop Header: Depth=2
	v_lshl_add_u32 v8, v7, 3, 0
	s_andn2_b32 s6, s6, exec_lo
	s_mov_b32 s7, exec_lo
	ds_read_b64 v[5:6], v8
	s_waitcnt lgkmcnt(0)
	v_cmpx_ne_u64_e64 v[5:6], v[3:4]
	s_cbranch_execz .LBB59_24
; %bb.26:                               ;   in Loop: Header=BB59_25 Depth=2
	s_mov_b32 s8, exec_lo
	v_cmpx_ne_u64_e64 s[16:17], v[5:6]
	s_xor_b32 s8, exec_lo, s8
; %bb.27:                               ;   in Loop: Header=BB59_25 Depth=2
	v_add_nc_u32_e32 v5, 1, v7
                                        ; implicit-def: $vgpr8
	v_and_b32_e32 v7, 0x7ff, v5
; %bb.28:                               ;   in Loop: Header=BB59_25 Depth=2
	s_or_saveexec_b32 s8, s8
	s_mov_b32 s9, -1
	s_xor_b32 exec_lo, exec_lo, s8
	s_cbranch_execz .LBB59_23
; %bb.29:                               ;   in Loop: Header=BB59_25 Depth=2
	v_mov_b32_e32 v5, s16
	v_mov_b32_e32 v6, s17
	ds_cmpst_rtn_b64 v[5:6], v8, v[5:6], v[3:4]
	s_waitcnt lgkmcnt(0)
	v_cmp_ne_u64_e32 vcc_lo, s[16:17], v[5:6]
	s_orn2_b32 s9, vcc_lo, exec_lo
	s_branch .LBB59_23
.LBB59_30:
	s_or_b32 exec_lo, exec_lo, s3
.LBB59_31:
	v_lshrrev_b32_e32 v3, 3, v0
	v_mbcnt_lo_u32_b32 v1, -1, 0
	v_mov_b32_e32 v2, 0
	v_cmp_lt_u32_e64 s0, 63, v0
	v_cmp_lt_u32_e64 s1, 0x7f, v0
	v_and_b32_e32 v3, 0x78, v3
	v_xor_b32_e32 v1, 31, v1
	v_cmp_lt_u32_e64 s2, 0xbf, v0
	v_cmp_lt_u32_e64 s3, 0xff, v0
	;; [unrolled: 1-line block ×3, first 2 shown]
	v_add_nc_u32_e32 v10, 0, v3
	v_mov_b32_e32 v3, 0
	v_lshrrev_b32_e64 v9, v1, -1
	v_cmp_lt_u32_e64 s5, 0x17f, v0
	v_cmp_lt_u32_e64 s6, 0x1bf, v0
	;; [unrolled: 1-line block ×9, first 2 shown]
	v_mov_b32_e32 v4, 0
	v_cmp_lt_u32_e64 s14, 0x3bf, v0
	s_mov_b32 s20, 0
	v_cmp_eq_u32_e32 vcc_lo, 0x3ff, v0
	s_waitcnt lgkmcnt(0)
	s_barrier
	buffer_gl0_inv
	s_branch .LBB59_33
.LBB59_32:                              ;   in Loop: Header=BB59_33 Depth=1
	s_or_b32 exec_lo, exec_lo, s15
	s_waitcnt lgkmcnt(0)
	s_barrier
	buffer_gl0_inv
	ds_read_b64 v[5:6], v2 offset:16504
	v_add_co_u32 v12, s15, 0x400, v12
	s_xor_b32 s21, s15, -1
	v_add_nc_u32_e32 v11, 0x2000, v11
	s_waitcnt lgkmcnt(0)
	v_add_co_u32 v3, s15, v5, v3
	v_add_co_ci_u32_e64 v4, null, v6, v4, s15
	s_and_b32 s15, exec_lo, s21
	s_or_b32 s20, s15, s20
	s_andn2_b32 exec_lo, exec_lo, s20
	s_cbranch_execz .LBB59_67
.LBB59_33:                              ; =>This Inner Loop Header: Depth=1
	ds_read_b64 v[5:6], v11
	s_waitcnt lgkmcnt(0)
	s_barrier
	buffer_gl0_inv
	v_cmp_gt_i64_e64 s15, s[16:17], v[5:6]
	v_and_b32_e32 v7, s15, v9
	s_bcnt1_i32_b32 s21, s15
	v_mov_b32_e32 v1, s21
	v_bcnt_u32_b32 v7, v7, 0
	ds_write_b64 v10, v[1:2] offset:16384
	s_waitcnt lgkmcnt(0)
	s_barrier
	buffer_gl0_inv
	s_and_saveexec_b32 s21, s0
	s_cbranch_execnz .LBB59_50
; %bb.34:                               ;   in Loop: Header=BB59_33 Depth=1
	s_or_b32 exec_lo, exec_lo, s21
	s_and_saveexec_b32 s21, s1
	s_cbranch_execnz .LBB59_51
.LBB59_35:                              ;   in Loop: Header=BB59_33 Depth=1
	s_or_b32 exec_lo, exec_lo, s21
	s_and_saveexec_b32 s21, s2
	s_cbranch_execnz .LBB59_52
.LBB59_36:                              ;   in Loop: Header=BB59_33 Depth=1
	s_or_b32 exec_lo, exec_lo, s21
	s_and_saveexec_b32 s21, s3
	s_cbranch_execnz .LBB59_53
.LBB59_37:                              ;   in Loop: Header=BB59_33 Depth=1
	s_or_b32 exec_lo, exec_lo, s21
	s_and_saveexec_b32 s21, s4
	s_cbranch_execnz .LBB59_54
.LBB59_38:                              ;   in Loop: Header=BB59_33 Depth=1
	s_or_b32 exec_lo, exec_lo, s21
	s_and_saveexec_b32 s21, s5
	s_cbranch_execnz .LBB59_55
.LBB59_39:                              ;   in Loop: Header=BB59_33 Depth=1
	s_or_b32 exec_lo, exec_lo, s21
	s_and_saveexec_b32 s21, s6
	s_cbranch_execnz .LBB59_56
.LBB59_40:                              ;   in Loop: Header=BB59_33 Depth=1
	s_or_b32 exec_lo, exec_lo, s21
	s_and_saveexec_b32 s21, s7
	s_cbranch_execnz .LBB59_57
.LBB59_41:                              ;   in Loop: Header=BB59_33 Depth=1
	s_or_b32 exec_lo, exec_lo, s21
	s_and_saveexec_b32 s21, s8
	s_cbranch_execnz .LBB59_58
.LBB59_42:                              ;   in Loop: Header=BB59_33 Depth=1
	s_or_b32 exec_lo, exec_lo, s21
	s_and_saveexec_b32 s21, s9
	s_cbranch_execnz .LBB59_59
.LBB59_43:                              ;   in Loop: Header=BB59_33 Depth=1
	s_or_b32 exec_lo, exec_lo, s21
	s_and_saveexec_b32 s21, s10
	s_cbranch_execnz .LBB59_60
.LBB59_44:                              ;   in Loop: Header=BB59_33 Depth=1
	s_or_b32 exec_lo, exec_lo, s21
	s_and_saveexec_b32 s21, s11
	s_cbranch_execnz .LBB59_61
.LBB59_45:                              ;   in Loop: Header=BB59_33 Depth=1
	s_or_b32 exec_lo, exec_lo, s21
	s_and_saveexec_b32 s21, s12
	s_cbranch_execnz .LBB59_62
.LBB59_46:                              ;   in Loop: Header=BB59_33 Depth=1
	s_or_b32 exec_lo, exec_lo, s21
	s_and_saveexec_b32 s21, s13
	s_cbranch_execnz .LBB59_63
.LBB59_47:                              ;   in Loop: Header=BB59_33 Depth=1
	s_or_b32 exec_lo, exec_lo, s21
	s_and_saveexec_b32 s21, s14
	s_cbranch_execnz .LBB59_64
.LBB59_48:                              ;   in Loop: Header=BB59_33 Depth=1
	s_or_b32 exec_lo, exec_lo, s21
	v_ashrrev_i32_e32 v8, 31, v7
	s_and_saveexec_b32 s21, s15
	s_cbranch_execnz .LBB59_65
.LBB59_49:                              ;   in Loop: Header=BB59_33 Depth=1
	s_or_b32 exec_lo, exec_lo, s21
	s_and_saveexec_b32 s15, vcc_lo
	s_cbranch_execz .LBB59_32
	s_branch .LBB59_66
.LBB59_50:                              ;   in Loop: Header=BB59_33 Depth=1
	ds_read_b32 v1, v2 offset:16384
	s_waitcnt lgkmcnt(0)
	v_add_nc_u32_e32 v7, v1, v7
	s_or_b32 exec_lo, exec_lo, s21
	s_and_saveexec_b32 s21, s1
	s_cbranch_execz .LBB59_35
.LBB59_51:                              ;   in Loop: Header=BB59_33 Depth=1
	ds_read_b32 v1, v2 offset:16392
	s_waitcnt lgkmcnt(0)
	v_add_nc_u32_e32 v7, v7, v1
	s_or_b32 exec_lo, exec_lo, s21
	s_and_saveexec_b32 s21, s2
	s_cbranch_execz .LBB59_36
.LBB59_52:                              ;   in Loop: Header=BB59_33 Depth=1
	ds_read_b32 v1, v2 offset:16400
	s_waitcnt lgkmcnt(0)
	v_add_nc_u32_e32 v7, v7, v1
	s_or_b32 exec_lo, exec_lo, s21
	s_and_saveexec_b32 s21, s3
	s_cbranch_execz .LBB59_37
.LBB59_53:                              ;   in Loop: Header=BB59_33 Depth=1
	ds_read_b32 v1, v2 offset:16408
	s_waitcnt lgkmcnt(0)
	v_add_nc_u32_e32 v7, v7, v1
	s_or_b32 exec_lo, exec_lo, s21
	s_and_saveexec_b32 s21, s4
	s_cbranch_execz .LBB59_38
.LBB59_54:                              ;   in Loop: Header=BB59_33 Depth=1
	ds_read_b32 v1, v2 offset:16416
	s_waitcnt lgkmcnt(0)
	v_add_nc_u32_e32 v7, v7, v1
	s_or_b32 exec_lo, exec_lo, s21
	s_and_saveexec_b32 s21, s5
	s_cbranch_execz .LBB59_39
.LBB59_55:                              ;   in Loop: Header=BB59_33 Depth=1
	ds_read_b32 v1, v2 offset:16424
	s_waitcnt lgkmcnt(0)
	v_add_nc_u32_e32 v7, v7, v1
	s_or_b32 exec_lo, exec_lo, s21
	s_and_saveexec_b32 s21, s6
	s_cbranch_execz .LBB59_40
.LBB59_56:                              ;   in Loop: Header=BB59_33 Depth=1
	ds_read_b32 v1, v2 offset:16432
	s_waitcnt lgkmcnt(0)
	v_add_nc_u32_e32 v7, v7, v1
	s_or_b32 exec_lo, exec_lo, s21
	s_and_saveexec_b32 s21, s7
	s_cbranch_execz .LBB59_41
.LBB59_57:                              ;   in Loop: Header=BB59_33 Depth=1
	ds_read_b32 v1, v2 offset:16440
	s_waitcnt lgkmcnt(0)
	v_add_nc_u32_e32 v7, v7, v1
	s_or_b32 exec_lo, exec_lo, s21
	s_and_saveexec_b32 s21, s8
	s_cbranch_execz .LBB59_42
.LBB59_58:                              ;   in Loop: Header=BB59_33 Depth=1
	ds_read_b32 v1, v2 offset:16448
	s_waitcnt lgkmcnt(0)
	v_add_nc_u32_e32 v7, v7, v1
	s_or_b32 exec_lo, exec_lo, s21
	s_and_saveexec_b32 s21, s9
	s_cbranch_execz .LBB59_43
.LBB59_59:                              ;   in Loop: Header=BB59_33 Depth=1
	ds_read_b32 v1, v2 offset:16456
	s_waitcnt lgkmcnt(0)
	v_add_nc_u32_e32 v7, v7, v1
	s_or_b32 exec_lo, exec_lo, s21
	s_and_saveexec_b32 s21, s10
	s_cbranch_execz .LBB59_44
.LBB59_60:                              ;   in Loop: Header=BB59_33 Depth=1
	ds_read_b32 v1, v2 offset:16464
	s_waitcnt lgkmcnt(0)
	v_add_nc_u32_e32 v7, v7, v1
	s_or_b32 exec_lo, exec_lo, s21
	s_and_saveexec_b32 s21, s11
	s_cbranch_execz .LBB59_45
.LBB59_61:                              ;   in Loop: Header=BB59_33 Depth=1
	ds_read_b32 v1, v2 offset:16472
	s_waitcnt lgkmcnt(0)
	v_add_nc_u32_e32 v7, v7, v1
	s_or_b32 exec_lo, exec_lo, s21
	s_and_saveexec_b32 s21, s12
	s_cbranch_execz .LBB59_46
.LBB59_62:                              ;   in Loop: Header=BB59_33 Depth=1
	ds_read_b32 v1, v2 offset:16480
	s_waitcnt lgkmcnt(0)
	v_add_nc_u32_e32 v7, v7, v1
	s_or_b32 exec_lo, exec_lo, s21
	s_and_saveexec_b32 s21, s13
	s_cbranch_execz .LBB59_47
.LBB59_63:                              ;   in Loop: Header=BB59_33 Depth=1
	ds_read_b32 v1, v2 offset:16488
	s_waitcnt lgkmcnt(0)
	v_add_nc_u32_e32 v7, v7, v1
	s_or_b32 exec_lo, exec_lo, s21
	s_and_saveexec_b32 s21, s14
	s_cbranch_execz .LBB59_48
.LBB59_64:                              ;   in Loop: Header=BB59_33 Depth=1
	ds_read_b32 v1, v2 offset:16496
	s_waitcnt lgkmcnt(0)
	v_add_nc_u32_e32 v7, v7, v1
	s_or_b32 exec_lo, exec_lo, s21
	v_ashrrev_i32_e32 v8, 31, v7
	s_and_saveexec_b32 s21, s15
	s_cbranch_execz .LBB59_49
.LBB59_65:                              ;   in Loop: Header=BB59_33 Depth=1
	v_lshlrev_b32_e32 v1, 3, v3
	v_lshlrev_b32_e32 v13, 3, v7
	v_add_nc_u32_e32 v1, 0, v1
	v_add3_u32 v1, v1, v13, -8
	ds_write_b64 v1, v[5:6]
	s_or_b32 exec_lo, exec_lo, s21
	s_and_saveexec_b32 s15, vcc_lo
	s_cbranch_execz .LBB59_32
.LBB59_66:                              ;   in Loop: Header=BB59_33 Depth=1
	ds_write_b64 v2, v[7:8] offset:16504
	s_branch .LBB59_32
.LBB59_67:
	s_or_b32 exec_lo, exec_lo, s20
	s_lshl_b64 s[0:1], s[18:19], 3
	v_mov_b32_e32 v1, 0
	s_add_u32 s0, s30, s0
	s_addc_u32 s1, s31, s1
	s_mov_b32 s6, exec_lo
	s_load_dwordx4 s[0:3], s[0:1], 0x0
	s_waitcnt lgkmcnt(0)
	s_sub_u32 s4, s2, s0
	s_subb_u32 s5, s3, s1
	v_cmpx_gt_i64_e64 s[4:5], v[0:1]
	s_cbranch_execz .LBB59_77
; %bb.68:
	s_sub_u32 s8, s0, s26
	s_subb_u32 s9, s1, 0
	s_and_b32 s6, s4, 7
	s_sub_u32 s0, s0, s2
	s_subb_u32 s1, s1, s3
	s_mov_b32 s7, 0
	v_cmp_lt_u64_e64 s12, s[0:1], -7
	s_and_b32 s2, s4, -8
	s_cmp_lg_u64 s[6:7], 0
	s_mov_b32 s3, s5
	s_cselect_b32 s13, -1, 0
	s_mov_b32 s14, s7
	s_branch .LBB59_70
.LBB59_69:                              ;   in Loop: Header=BB59_70 Depth=1
	v_add_co_u32 v0, vcc_lo, 0x400, v0
	v_lshlrev_b64 v[4:5], 3, v[4:5]
	v_add_co_ci_u32_e64 v1, null, 0, v1, vcc_lo
	s_waitcnt lgkmcnt(0)
	v_add_co_u32 v2, vcc_lo, v2, s26
	v_add_co_ci_u32_e64 v3, null, 0, v3, vcc_lo
	v_cmp_le_i64_e32 vcc_lo, s[4:5], v[0:1]
	v_add_co_u32 v4, s0, s34, v4
	v_add_co_ci_u32_e64 v5, null, s35, v5, s0
	s_or_b32 s14, vcc_lo, s14
	global_store_dwordx2 v[4:5], v[2:3], off
	s_andn2_b32 exec_lo, exec_lo, s14
	s_cbranch_execz .LBB59_77
.LBB59_70:                              ; =>This Loop Header: Depth=1
                                        ;     Child Loop BB59_72 Depth 2
                                        ;     Child Loop BB59_76 Depth 2
	v_lshl_add_u32 v2, v0, 3, 0
	v_mov_b32_e32 v4, s8
	v_mov_b32_e32 v5, s9
	s_andn2_b32 vcc_lo, exec_lo, s12
	s_mov_b64 s[0:1], 0
	ds_read_b64 v[2:3], v2
	s_cbranch_vccnz .LBB59_74
; %bb.71:                               ;   in Loop: Header=BB59_70 Depth=1
	v_mov_b32_e32 v4, s8
	v_mov_b32_e32 v5, s9
	s_mov_b64 s[10:11], 0
	s_mov_b32 s1, 0
.LBB59_72:                              ;   Parent Loop BB59_70 Depth=1
                                        ; =>  This Inner Loop Header: Depth=2
	v_mov_b32_e32 v18, s1
	s_add_u32 s10, s10, 8
	s_addc_u32 s11, s11, 0
	s_add_i32 s1, s1, 64
	s_cmp_eq_u64 s[2:3], s[10:11]
	ds_read2_b64 v[6:9], v18 offset1:1
	ds_read2_b64 v[10:13], v18 offset0:2 offset1:3
	ds_read2_b64 v[14:17], v18 offset0:4 offset1:5
	;; [unrolled: 1-line block ×3, first 2 shown]
	s_waitcnt lgkmcnt(3)
	v_cmp_gt_i64_e32 vcc_lo, v[2:3], v[6:7]
	v_cndmask_b32_e64 v6, 0, 1, vcc_lo
	v_cmp_gt_i64_e32 vcc_lo, v[2:3], v[8:9]
	v_cndmask_b32_e64 v7, 0, 1, vcc_lo
	s_waitcnt lgkmcnt(2)
	v_cmp_gt_i64_e32 vcc_lo, v[2:3], v[10:11]
	v_cndmask_b32_e64 v8, 0, 1, vcc_lo
	v_cmp_gt_i64_e32 vcc_lo, v[2:3], v[12:13]
	v_cndmask_b32_e64 v9, 0, 1, vcc_lo
	s_waitcnt lgkmcnt(1)
	v_cmp_gt_i64_e32 vcc_lo, v[2:3], v[14:15]
	v_cndmask_b32_e64 v10, 0, 1, vcc_lo
	v_add_co_u32 v4, vcc_lo, v4, v6
	v_add_co_ci_u32_e64 v5, null, 0, v5, vcc_lo
	v_cmp_gt_i64_e32 vcc_lo, v[2:3], v[16:17]
	v_add_co_u32 v4, s0, v4, v7
	v_add_co_ci_u32_e64 v5, null, 0, v5, s0
	v_cndmask_b32_e64 v6, 0, 1, vcc_lo
	v_add_co_u32 v4, vcc_lo, v4, v8
	v_add_co_ci_u32_e64 v5, null, 0, v5, vcc_lo
	s_waitcnt lgkmcnt(0)
	v_cmp_gt_i64_e32 vcc_lo, v[2:3], v[18:19]
	v_add_co_u32 v4, s0, v4, v9
	v_add_co_ci_u32_e64 v5, null, 0, v5, s0
	v_cndmask_b32_e64 v7, 0, 1, vcc_lo
	v_add_co_u32 v4, vcc_lo, v4, v10
	v_add_co_ci_u32_e64 v5, null, 0, v5, vcc_lo
	v_cmp_gt_i64_e32 vcc_lo, v[2:3], v[20:21]
	v_add_co_u32 v4, s0, v4, v6
	v_add_co_ci_u32_e64 v5, null, 0, v5, s0
	v_cndmask_b32_e64 v6, 0, 1, vcc_lo
	v_add_co_u32 v4, vcc_lo, v4, v7
	v_add_co_ci_u32_e64 v5, null, 0, v5, vcc_lo
	v_add_co_u32 v4, vcc_lo, v4, v6
	v_add_co_ci_u32_e64 v5, null, 0, v5, vcc_lo
	s_cbranch_scc0 .LBB59_72
; %bb.73:                               ;   in Loop: Header=BB59_70 Depth=1
	s_mov_b64 s[0:1], s[2:3]
.LBB59_74:                              ;   in Loop: Header=BB59_70 Depth=1
	s_andn2_b32 vcc_lo, exec_lo, s13
	s_cbranch_vccnz .LBB59_69
; %bb.75:                               ;   in Loop: Header=BB59_70 Depth=1
	s_lshl_b32 s0, s0, 3
	s_add_i32 s10, s0, 0
	s_mov_b64 s[0:1], s[6:7]
.LBB59_76:                              ;   Parent Loop BB59_70 Depth=1
                                        ; =>  This Inner Loop Header: Depth=2
	v_mov_b32_e32 v6, s10
	s_add_i32 s10, s10, 8
	s_add_u32 s0, s0, -1
	s_addc_u32 s1, s1, -1
	s_cmp_lg_u64 s[0:1], 0
	ds_read_b64 v[6:7], v6
	s_waitcnt lgkmcnt(0)
	v_cmp_gt_i64_e32 vcc_lo, v[2:3], v[6:7]
	v_cndmask_b32_e64 v6, 0, 1, vcc_lo
	v_add_co_u32 v4, vcc_lo, v4, v6
	v_add_co_ci_u32_e64 v5, null, 0, v5, vcc_lo
	s_cbranch_scc1 .LBB59_76
	s_branch .LBB59_69
.LBB59_77:
	s_endpgm
	.section	.rodata,"a",@progbits
	.p2align	6, 0x0
	.amdhsa_kernel _ZN9rocsparseL35csrgemm_symbolic_fill_block_per_rowILj1024ELj32ELj2048ELj137ELj64EllEEvT5_PKS1_S3_PKT4_S3_S6_S3_S6_S3_S6_PS1_21rocsparse_index_base_S8_S8_S8_bb
		.amdhsa_group_segment_fixed_size 0
		.amdhsa_private_segment_fixed_size 0
		.amdhsa_kernarg_size 108
		.amdhsa_user_sgpr_count 6
		.amdhsa_user_sgpr_private_segment_buffer 1
		.amdhsa_user_sgpr_dispatch_ptr 0
		.amdhsa_user_sgpr_queue_ptr 0
		.amdhsa_user_sgpr_kernarg_segment_ptr 1
		.amdhsa_user_sgpr_dispatch_id 0
		.amdhsa_user_sgpr_flat_scratch_init 0
		.amdhsa_user_sgpr_private_segment_size 0
		.amdhsa_wavefront_size32 1
		.amdhsa_uses_dynamic_stack 0
		.amdhsa_system_sgpr_private_segment_wavefront_offset 0
		.amdhsa_system_sgpr_workgroup_id_x 1
		.amdhsa_system_sgpr_workgroup_id_y 0
		.amdhsa_system_sgpr_workgroup_id_z 0
		.amdhsa_system_sgpr_workgroup_info 0
		.amdhsa_system_vgpr_workitem_id 0
		.amdhsa_next_free_vgpr 22
		.amdhsa_next_free_sgpr 36
		.amdhsa_reserve_vcc 1
		.amdhsa_reserve_flat_scratch 0
		.amdhsa_float_round_mode_32 0
		.amdhsa_float_round_mode_16_64 0
		.amdhsa_float_denorm_mode_32 3
		.amdhsa_float_denorm_mode_16_64 3
		.amdhsa_dx10_clamp 1
		.amdhsa_ieee_mode 1
		.amdhsa_fp16_overflow 0
		.amdhsa_workgroup_processor_mode 1
		.amdhsa_memory_ordered 1
		.amdhsa_forward_progress 1
		.amdhsa_shared_vgpr_count 0
		.amdhsa_exception_fp_ieee_invalid_op 0
		.amdhsa_exception_fp_denorm_src 0
		.amdhsa_exception_fp_ieee_div_zero 0
		.amdhsa_exception_fp_ieee_overflow 0
		.amdhsa_exception_fp_ieee_underflow 0
		.amdhsa_exception_fp_ieee_inexact 0
		.amdhsa_exception_int_div_zero 0
	.end_amdhsa_kernel
	.section	.text._ZN9rocsparseL35csrgemm_symbolic_fill_block_per_rowILj1024ELj32ELj2048ELj137ELj64EllEEvT5_PKS1_S3_PKT4_S3_S6_S3_S6_S3_S6_PS1_21rocsparse_index_base_S8_S8_S8_bb,"axG",@progbits,_ZN9rocsparseL35csrgemm_symbolic_fill_block_per_rowILj1024ELj32ELj2048ELj137ELj64EllEEvT5_PKS1_S3_PKT4_S3_S6_S3_S6_S3_S6_PS1_21rocsparse_index_base_S8_S8_S8_bb,comdat
.Lfunc_end59:
	.size	_ZN9rocsparseL35csrgemm_symbolic_fill_block_per_rowILj1024ELj32ELj2048ELj137ELj64EllEEvT5_PKS1_S3_PKT4_S3_S6_S3_S6_S3_S6_PS1_21rocsparse_index_base_S8_S8_S8_bb, .Lfunc_end59-_ZN9rocsparseL35csrgemm_symbolic_fill_block_per_rowILj1024ELj32ELj2048ELj137ELj64EllEEvT5_PKS1_S3_PKT4_S3_S6_S3_S6_S3_S6_PS1_21rocsparse_index_base_S8_S8_S8_bb
                                        ; -- End function
	.set _ZN9rocsparseL35csrgemm_symbolic_fill_block_per_rowILj1024ELj32ELj2048ELj137ELj64EllEEvT5_PKS1_S3_PKT4_S3_S6_S3_S6_S3_S6_PS1_21rocsparse_index_base_S8_S8_S8_bb.num_vgpr, 22
	.set _ZN9rocsparseL35csrgemm_symbolic_fill_block_per_rowILj1024ELj32ELj2048ELj137ELj64EllEEvT5_PKS1_S3_PKT4_S3_S6_S3_S6_S3_S6_PS1_21rocsparse_index_base_S8_S8_S8_bb.num_agpr, 0
	.set _ZN9rocsparseL35csrgemm_symbolic_fill_block_per_rowILj1024ELj32ELj2048ELj137ELj64EllEEvT5_PKS1_S3_PKT4_S3_S6_S3_S6_S3_S6_PS1_21rocsparse_index_base_S8_S8_S8_bb.numbered_sgpr, 36
	.set _ZN9rocsparseL35csrgemm_symbolic_fill_block_per_rowILj1024ELj32ELj2048ELj137ELj64EllEEvT5_PKS1_S3_PKT4_S3_S6_S3_S6_S3_S6_PS1_21rocsparse_index_base_S8_S8_S8_bb.num_named_barrier, 0
	.set _ZN9rocsparseL35csrgemm_symbolic_fill_block_per_rowILj1024ELj32ELj2048ELj137ELj64EllEEvT5_PKS1_S3_PKT4_S3_S6_S3_S6_S3_S6_PS1_21rocsparse_index_base_S8_S8_S8_bb.private_seg_size, 0
	.set _ZN9rocsparseL35csrgemm_symbolic_fill_block_per_rowILj1024ELj32ELj2048ELj137ELj64EllEEvT5_PKS1_S3_PKT4_S3_S6_S3_S6_S3_S6_PS1_21rocsparse_index_base_S8_S8_S8_bb.uses_vcc, 1
	.set _ZN9rocsparseL35csrgemm_symbolic_fill_block_per_rowILj1024ELj32ELj2048ELj137ELj64EllEEvT5_PKS1_S3_PKT4_S3_S6_S3_S6_S3_S6_PS1_21rocsparse_index_base_S8_S8_S8_bb.uses_flat_scratch, 0
	.set _ZN9rocsparseL35csrgemm_symbolic_fill_block_per_rowILj1024ELj32ELj2048ELj137ELj64EllEEvT5_PKS1_S3_PKT4_S3_S6_S3_S6_S3_S6_PS1_21rocsparse_index_base_S8_S8_S8_bb.has_dyn_sized_stack, 0
	.set _ZN9rocsparseL35csrgemm_symbolic_fill_block_per_rowILj1024ELj32ELj2048ELj137ELj64EllEEvT5_PKS1_S3_PKT4_S3_S6_S3_S6_S3_S6_PS1_21rocsparse_index_base_S8_S8_S8_bb.has_recursion, 0
	.set _ZN9rocsparseL35csrgemm_symbolic_fill_block_per_rowILj1024ELj32ELj2048ELj137ELj64EllEEvT5_PKS1_S3_PKT4_S3_S6_S3_S6_S3_S6_PS1_21rocsparse_index_base_S8_S8_S8_bb.has_indirect_call, 0
	.section	.AMDGPU.csdata,"",@progbits
; Kernel info:
; codeLenInByte = 3060
; TotalNumSgprs: 38
; NumVgprs: 22
; ScratchSize: 0
; MemoryBound: 0
; FloatMode: 240
; IeeeMode: 1
; LDSByteSize: 0 bytes/workgroup (compile time only)
; SGPRBlocks: 0
; VGPRBlocks: 2
; NumSGPRsForWavesPerEU: 38
; NumVGPRsForWavesPerEU: 22
; Occupancy: 16
; WaveLimiterHint : 1
; COMPUTE_PGM_RSRC2:SCRATCH_EN: 0
; COMPUTE_PGM_RSRC2:USER_SGPR: 6
; COMPUTE_PGM_RSRC2:TRAP_HANDLER: 0
; COMPUTE_PGM_RSRC2:TGID_X_EN: 1
; COMPUTE_PGM_RSRC2:TGID_Y_EN: 0
; COMPUTE_PGM_RSRC2:TGID_Z_EN: 0
; COMPUTE_PGM_RSRC2:TIDIG_COMP_CNT: 0
	.section	.text._ZN9rocsparseL35csrgemm_symbolic_fill_block_per_rowILj1024ELj64ELj4096ELj137ELj32EllEEvT5_PKS1_S3_PKT4_S3_S6_S3_S6_S3_S6_PS1_21rocsparse_index_base_S8_S8_S8_bb,"axG",@progbits,_ZN9rocsparseL35csrgemm_symbolic_fill_block_per_rowILj1024ELj64ELj4096ELj137ELj32EllEEvT5_PKS1_S3_PKT4_S3_S6_S3_S6_S3_S6_PS1_21rocsparse_index_base_S8_S8_S8_bb,comdat
	.globl	_ZN9rocsparseL35csrgemm_symbolic_fill_block_per_rowILj1024ELj64ELj4096ELj137ELj32EllEEvT5_PKS1_S3_PKT4_S3_S6_S3_S6_S3_S6_PS1_21rocsparse_index_base_S8_S8_S8_bb ; -- Begin function _ZN9rocsparseL35csrgemm_symbolic_fill_block_per_rowILj1024ELj64ELj4096ELj137ELj32EllEEvT5_PKS1_S3_PKT4_S3_S6_S3_S6_S3_S6_PS1_21rocsparse_index_base_S8_S8_S8_bb
	.p2align	8
	.type	_ZN9rocsparseL35csrgemm_symbolic_fill_block_per_rowILj1024ELj64ELj4096ELj137ELj32EllEEvT5_PKS1_S3_PKT4_S3_S6_S3_S6_S3_S6_PS1_21rocsparse_index_base_S8_S8_S8_bb,@function
_ZN9rocsparseL35csrgemm_symbolic_fill_block_per_rowILj1024ELj64ELj4096ELj137ELj32EllEEvT5_PKS1_S3_PKT4_S3_S6_S3_S6_S3_S6_PS1_21rocsparse_index_base_S8_S8_S8_bb: ; @_ZN9rocsparseL35csrgemm_symbolic_fill_block_per_rowILj1024ELj64ELj4096ELj137ELj32EllEEvT5_PKS1_S3_PKT4_S3_S6_S3_S6_S3_S6_PS1_21rocsparse_index_base_S8_S8_S8_bb
; %bb.0:
	s_clause 0x3
	s_load_dwordx8 s[36:43], s[4:5], 0x0
	s_load_dwordx2 s[34:35], s[4:5], 0x50
	s_load_dwordx4 s[48:51], s[4:5], 0x40
	s_load_dwordx8 s[8:15], s[4:5], 0x20
	v_lshl_add_u32 v11, v0, 3, 0
	v_or_b32_e32 v12, 0xfffffc00, v0
	s_mov_b32 s0, 0
	v_mov_b32_e32 v3, v11
	v_mov_b32_e32 v4, v12
	s_waitcnt lgkmcnt(0)
	v_mov_b32_e32 v1, s36
	v_mov_b32_e32 v2, s37
.LBB60_1:                               ; =>This Inner Loop Header: Depth=1
	v_add_nc_u32_e32 v4, 0x400, v4
	ds_write_b64 v3, v[1:2]
	v_add_nc_u32_e32 v3, 0x2000, v3
	v_cmp_lt_u32_e32 vcc_lo, 0xbff, v4
	s_or_b32 s0, vcc_lo, s0
	s_andn2_b32 exec_lo, exec_lo, s0
	s_cbranch_execnz .LBB60_1
; %bb.2:
	s_or_b32 exec_lo, exec_lo, s0
	s_load_dword s2, s[4:5], 0x68
	s_waitcnt lgkmcnt(0)
	s_barrier
	buffer_gl0_inv
	s_load_dwordx2 s[0:1], s[38:39], 0x0
	s_mov_b32 s7, 0
	s_bitcmp1_b32 s2, 0
	s_cselect_b32 s3, -1, 0
	s_waitcnt lgkmcnt(0)
	s_lshl_b64 s[0:1], s[0:1], 3
	s_add_u32 s16, s40, s0
	s_addc_u32 s17, s41, s1
	s_lshl_b64 s[0:1], s[6:7], 3
	s_add_u32 s0, s16, s0
	s_addc_u32 s1, s17, s1
	s_load_dwordx4 s[44:47], s[4:5], 0x58
	s_load_dwordx2 s[38:39], s[0:1], 0x0
	s_and_b32 vcc_lo, exec_lo, s3
	s_cbranch_vccz .LBB60_18
; %bb.3:
	s_waitcnt lgkmcnt(0)
	s_lshl_b64 s[0:1], s[38:39], 3
	v_lshrrev_b32_e32 v1, 6, v0
	s_add_u32 s0, s42, s0
	s_addc_u32 s1, s43, s1
	s_mov_b32 s3, exec_lo
	s_load_dwordx4 s[4:7], s[0:1], 0x0
	v_sub_co_u32 v1, s0, v1, s44
	v_sub_co_ci_u32_e64 v2, null, 0, 0, s0
	s_waitcnt lgkmcnt(0)
	v_add_co_u32 v1, vcc_lo, s4, v1
	v_add_co_ci_u32_e64 v2, null, s5, v2, vcc_lo
	s_sub_u32 s0, s6, s44
	s_subb_u32 s1, s7, 0
	v_cmpx_gt_i64_e64 s[0:1], v[1:2]
	s_cbranch_execz .LBB60_17
; %bb.4:
	v_and_b32_e32 v3, 63, v0
	s_mov_b32 s5, s45
	v_sub_co_u32 v13, s4, v3, s45
	v_sub_co_ci_u32_e64 v14, null, 0, 0, s4
	s_mov_b32 s4, 0
	s_branch .LBB60_6
.LBB60_5:                               ;   in Loop: Header=BB60_6 Depth=1
	s_or_b32 exec_lo, exec_lo, s6
	v_add_co_u32 v1, vcc_lo, v1, 16
	v_add_co_ci_u32_e64 v2, null, 0, v2, vcc_lo
	v_cmp_le_i64_e32 vcc_lo, s[0:1], v[1:2]
	s_or_b32 s4, vcc_lo, s4
	s_andn2_b32 exec_lo, exec_lo, s4
	s_cbranch_execz .LBB60_17
.LBB60_6:                               ; =>This Loop Header: Depth=1
                                        ;     Child Loop BB60_9 Depth 2
                                        ;       Child Loop BB60_12 Depth 3
	v_lshlrev_b64 v[3:4], 3, v[1:2]
	s_mov_b32 s6, exec_lo
	v_add_co_u32 v3, vcc_lo, s8, v3
	v_add_co_ci_u32_e64 v4, null, s9, v4, vcc_lo
	global_load_dwordx2 v[3:4], v[3:4], off
	s_waitcnt vmcnt(0)
	v_sub_co_u32 v3, vcc_lo, v3, s44
	v_subrev_co_ci_u32_e64 v4, null, 0, v4, vcc_lo
	v_lshlrev_b64 v[3:4], 3, v[3:4]
	v_add_co_u32 v3, vcc_lo, s10, v3
	v_add_co_ci_u32_e64 v4, null, s11, v4, vcc_lo
	global_load_dwordx4 v[5:8], v[3:4], off
	s_waitcnt vmcnt(0)
	v_sub_co_u32 v3, vcc_lo, v7, s5
	v_subrev_co_ci_u32_e64 v4, null, 0, v8, vcc_lo
	v_add_co_u32 v5, vcc_lo, v5, v13
	v_add_co_ci_u32_e64 v6, null, v6, v14, vcc_lo
	v_cmpx_lt_i64_e64 v[5:6], v[3:4]
	s_cbranch_execz .LBB60_5
; %bb.7:                                ;   in Loop: Header=BB60_6 Depth=1
	s_mov_b32 s7, 0
	s_branch .LBB60_9
.LBB60_8:                               ;   in Loop: Header=BB60_9 Depth=2
	s_inst_prefetch 0x2
	s_or_b32 exec_lo, exec_lo, s16
	v_add_co_u32 v5, vcc_lo, v5, 64
	v_add_co_ci_u32_e64 v6, null, 0, v6, vcc_lo
	v_cmp_ge_i64_e32 vcc_lo, v[5:6], v[3:4]
	s_or_b32 s7, vcc_lo, s7
	s_andn2_b32 exec_lo, exec_lo, s7
	s_cbranch_execz .LBB60_5
.LBB60_9:                               ;   Parent Loop BB60_6 Depth=1
                                        ; =>  This Loop Header: Depth=2
                                        ;       Child Loop BB60_12 Depth 3
	v_lshlrev_b64 v[7:8], 3, v[5:6]
	s_mov_b32 s16, 0
                                        ; implicit-def: $sgpr17
	v_add_co_u32 v7, vcc_lo, s12, v7
	v_add_co_ci_u32_e64 v8, null, s13, v8, vcc_lo
	global_load_dwordx2 v[7:8], v[7:8], off
	s_waitcnt vmcnt(0)
	v_sub_co_u32 v7, vcc_lo, v7, s5
	v_subrev_co_ci_u32_e64 v8, null, 0, v8, vcc_lo
	v_mul_lo_u32 v9, 0x89, v7
	v_and_b32_e32 v15, 0xfff, v9
	s_inst_prefetch 0x1
	s_branch .LBB60_12
	.p2align	6
.LBB60_10:                              ;   in Loop: Header=BB60_12 Depth=3
	s_or_b32 exec_lo, exec_lo, s19
	s_andn2_b32 s17, s17, exec_lo
	s_and_b32 s19, s20, exec_lo
	s_or_b32 s17, s17, s19
.LBB60_11:                              ;   in Loop: Header=BB60_12 Depth=3
	s_or_b32 exec_lo, exec_lo, s18
	s_xor_b32 s18, s17, -1
	s_and_b32 s18, exec_lo, s18
	s_or_b32 s16, s18, s16
	s_andn2_b32 exec_lo, exec_lo, s16
	s_cbranch_execz .LBB60_8
.LBB60_12:                              ;   Parent Loop BB60_6 Depth=1
                                        ;     Parent Loop BB60_9 Depth=2
                                        ; =>    This Inner Loop Header: Depth=3
	v_lshl_add_u32 v16, v15, 3, 0
	s_andn2_b32 s17, s17, exec_lo
	s_mov_b32 s18, exec_lo
	ds_read_b64 v[9:10], v16
	s_waitcnt lgkmcnt(0)
	v_cmpx_ne_u64_e64 v[9:10], v[7:8]
	s_cbranch_execz .LBB60_11
; %bb.13:                               ;   in Loop: Header=BB60_12 Depth=3
	s_mov_b32 s19, exec_lo
	v_cmpx_ne_u64_e64 s[36:37], v[9:10]
	s_xor_b32 s19, exec_lo, s19
; %bb.14:                               ;   in Loop: Header=BB60_12 Depth=3
	v_add_nc_u32_e32 v9, 1, v15
                                        ; implicit-def: $vgpr16
	v_and_b32_e32 v15, 0xfff, v9
; %bb.15:                               ;   in Loop: Header=BB60_12 Depth=3
	s_or_saveexec_b32 s19, s19
	s_mov_b32 s20, -1
	s_xor_b32 exec_lo, exec_lo, s19
	s_cbranch_execz .LBB60_10
; %bb.16:                               ;   in Loop: Header=BB60_12 Depth=3
	v_mov_b32_e32 v9, s36
	v_mov_b32_e32 v10, s37
	ds_cmpst_rtn_b64 v[9:10], v16, v[9:10], v[7:8]
	s_waitcnt lgkmcnt(0)
	v_cmp_ne_u64_e32 vcc_lo, s[36:37], v[9:10]
	s_orn2_b32 s20, vcc_lo, exec_lo
	s_branch .LBB60_10
.LBB60_17:
	s_or_b32 exec_lo, exec_lo, s3
.LBB60_18:
	s_bfe_u32 s0, s2, 0x10008
	s_cmp_eq_u32 s0, 0
	s_cbranch_scc1 .LBB60_31
; %bb.19:
	s_waitcnt lgkmcnt(0)
	s_lshl_b64 s[0:1], s[38:39], 3
	v_sub_co_u32 v1, s4, v0, s47
	s_add_u32 s0, s14, s0
	s_addc_u32 s1, s15, s1
	v_sub_co_ci_u32_e64 v2, null, 0, 0, s4
	s_load_dwordx4 s[0:3], s[0:1], 0x0
	s_waitcnt lgkmcnt(0)
	v_add_co_u32 v1, vcc_lo, s0, v1
	v_add_co_ci_u32_e64 v2, null, s1, v2, vcc_lo
	s_sub_u32 s0, s2, s47
	s_subb_u32 s1, s3, 0
	s_mov_b32 s2, 0
	s_mov_b32 s3, exec_lo
	v_cmpx_gt_i64_e64 s[0:1], v[1:2]
	s_cbranch_execz .LBB60_30
; %bb.20:
	s_mov_b32 s4, s47
	s_branch .LBB60_22
.LBB60_21:                              ;   in Loop: Header=BB60_22 Depth=1
	s_inst_prefetch 0x2
	s_or_b32 exec_lo, exec_lo, s5
	v_add_co_u32 v1, vcc_lo, 0x400, v1
	v_add_co_ci_u32_e64 v2, null, 0, v2, vcc_lo
	v_cmp_le_i64_e32 vcc_lo, s[0:1], v[1:2]
	s_or_b32 s2, vcc_lo, s2
	s_andn2_b32 exec_lo, exec_lo, s2
	s_cbranch_execz .LBB60_30
.LBB60_22:                              ; =>This Loop Header: Depth=1
                                        ;     Child Loop BB60_25 Depth 2
	v_lshlrev_b64 v[3:4], 3, v[1:2]
	s_mov_b32 s5, 0
                                        ; implicit-def: $sgpr6
	v_add_co_u32 v3, vcc_lo, s48, v3
	v_add_co_ci_u32_e64 v4, null, s49, v4, vcc_lo
	global_load_dwordx2 v[3:4], v[3:4], off
	s_waitcnt vmcnt(0)
	v_sub_co_u32 v3, vcc_lo, v3, s4
	v_subrev_co_ci_u32_e64 v4, null, 0, v4, vcc_lo
	v_mul_lo_u32 v5, 0x89, v3
	v_and_b32_e32 v7, 0xfff, v5
	s_inst_prefetch 0x1
	s_branch .LBB60_25
	.p2align	6
.LBB60_23:                              ;   in Loop: Header=BB60_25 Depth=2
	s_or_b32 exec_lo, exec_lo, s8
	s_andn2_b32 s6, s6, exec_lo
	s_and_b32 s8, s9, exec_lo
	s_or_b32 s6, s6, s8
.LBB60_24:                              ;   in Loop: Header=BB60_25 Depth=2
	s_or_b32 exec_lo, exec_lo, s7
	s_xor_b32 s7, s6, -1
	s_and_b32 s7, exec_lo, s7
	s_or_b32 s5, s7, s5
	s_andn2_b32 exec_lo, exec_lo, s5
	s_cbranch_execz .LBB60_21
.LBB60_25:                              ;   Parent Loop BB60_22 Depth=1
                                        ; =>  This Inner Loop Header: Depth=2
	v_lshl_add_u32 v8, v7, 3, 0
	s_andn2_b32 s6, s6, exec_lo
	s_mov_b32 s7, exec_lo
	ds_read_b64 v[5:6], v8
	s_waitcnt lgkmcnt(0)
	v_cmpx_ne_u64_e64 v[5:6], v[3:4]
	s_cbranch_execz .LBB60_24
; %bb.26:                               ;   in Loop: Header=BB60_25 Depth=2
	s_mov_b32 s8, exec_lo
	v_cmpx_ne_u64_e64 s[36:37], v[5:6]
	s_xor_b32 s8, exec_lo, s8
; %bb.27:                               ;   in Loop: Header=BB60_25 Depth=2
	v_add_nc_u32_e32 v5, 1, v7
                                        ; implicit-def: $vgpr8
	v_and_b32_e32 v7, 0xfff, v5
; %bb.28:                               ;   in Loop: Header=BB60_25 Depth=2
	s_or_saveexec_b32 s8, s8
	s_mov_b32 s9, -1
	s_xor_b32 exec_lo, exec_lo, s8
	s_cbranch_execz .LBB60_23
; %bb.29:                               ;   in Loop: Header=BB60_25 Depth=2
	v_mov_b32_e32 v5, s36
	v_mov_b32_e32 v6, s37
	ds_cmpst_rtn_b64 v[5:6], v8, v[5:6], v[3:4]
	s_waitcnt lgkmcnt(0)
	v_cmp_ne_u64_e32 vcc_lo, s[36:37], v[5:6]
	s_orn2_b32 s9, vcc_lo, exec_lo
	s_branch .LBB60_23
.LBB60_30:
	s_or_b32 exec_lo, exec_lo, s3
.LBB60_31:
	v_lshrrev_b32_e32 v3, 2, v0
	v_mbcnt_lo_u32_b32 v1, -1, 0
	v_mov_b32_e32 v2, 0
	v_cmp_lt_u32_e64 s0, 31, v0
	v_cmp_lt_u32_e64 s1, 63, v0
	v_and_b32_e32 v3, 0xf8, v3
	v_xor_b32_e32 v1, 31, v1
	v_cmp_lt_u32_e64 s2, 0x5f, v0
	v_cmp_lt_u32_e64 s3, 0x7f, v0
	;; [unrolled: 1-line block ×3, first 2 shown]
	v_add_nc_u32_e32 v10, 0, v3
	v_mov_b32_e32 v3, 0
	v_lshrrev_b32_e64 v9, v1, -1
	v_cmp_lt_u32_e64 s5, 0xbf, v0
	v_cmp_lt_u32_e64 s6, 0xdf, v0
	;; [unrolled: 1-line block ×25, first 2 shown]
	v_mov_b32_e32 v4, 0
	v_cmp_lt_u32_e64 s30, 0x3df, v0
	s_mov_b32 s40, 0
	v_cmp_eq_u32_e32 vcc_lo, 0x3ff, v0
	s_waitcnt lgkmcnt(0)
	s_barrier
	buffer_gl0_inv
	s_branch .LBB60_33
.LBB60_32:                              ;   in Loop: Header=BB60_33 Depth=1
	s_or_b32 exec_lo, exec_lo, s31
	s_waitcnt lgkmcnt(0)
	s_barrier
	buffer_gl0_inv
	ds_read_b64 v[5:6], v2 offset:33016
	v_add_nc_u32_e32 v12, 0x400, v12
	v_add_nc_u32_e32 v11, 0x2000, v11
	v_cmp_lt_u32_e64 s31, 0xbff, v12
	s_or_b32 s40, s31, s40
	s_waitcnt lgkmcnt(0)
	v_add_co_u32 v3, s33, v5, v3
	v_add_co_ci_u32_e64 v4, null, v6, v4, s33
	s_andn2_b32 exec_lo, exec_lo, s40
	s_cbranch_execz .LBB60_99
.LBB60_33:                              ; =>This Inner Loop Header: Depth=1
	ds_read_b64 v[5:6], v11
	s_waitcnt lgkmcnt(0)
	s_barrier
	buffer_gl0_inv
	v_cmp_gt_i64_e64 s31, s[36:37], v[5:6]
	v_and_b32_e32 v7, s31, v9
	s_bcnt1_i32_b32 s33, s31
	v_mov_b32_e32 v1, s33
	v_bcnt_u32_b32 v7, v7, 0
	ds_write_b64 v10, v[1:2] offset:32768
	s_waitcnt lgkmcnt(0)
	s_barrier
	buffer_gl0_inv
	s_and_saveexec_b32 s33, s0
	s_cbranch_execnz .LBB60_66
; %bb.34:                               ;   in Loop: Header=BB60_33 Depth=1
	s_or_b32 exec_lo, exec_lo, s33
	s_and_saveexec_b32 s33, s1
	s_cbranch_execnz .LBB60_67
.LBB60_35:                              ;   in Loop: Header=BB60_33 Depth=1
	s_or_b32 exec_lo, exec_lo, s33
	s_and_saveexec_b32 s33, s2
	s_cbranch_execnz .LBB60_68
.LBB60_36:                              ;   in Loop: Header=BB60_33 Depth=1
	s_or_b32 exec_lo, exec_lo, s33
	s_and_saveexec_b32 s33, s3
	s_cbranch_execnz .LBB60_69
.LBB60_37:                              ;   in Loop: Header=BB60_33 Depth=1
	s_or_b32 exec_lo, exec_lo, s33
	s_and_saveexec_b32 s33, s4
	s_cbranch_execnz .LBB60_70
.LBB60_38:                              ;   in Loop: Header=BB60_33 Depth=1
	s_or_b32 exec_lo, exec_lo, s33
	s_and_saveexec_b32 s33, s5
	s_cbranch_execnz .LBB60_71
.LBB60_39:                              ;   in Loop: Header=BB60_33 Depth=1
	s_or_b32 exec_lo, exec_lo, s33
	s_and_saveexec_b32 s33, s6
	s_cbranch_execnz .LBB60_72
.LBB60_40:                              ;   in Loop: Header=BB60_33 Depth=1
	s_or_b32 exec_lo, exec_lo, s33
	s_and_saveexec_b32 s33, s7
	s_cbranch_execnz .LBB60_73
.LBB60_41:                              ;   in Loop: Header=BB60_33 Depth=1
	s_or_b32 exec_lo, exec_lo, s33
	s_and_saveexec_b32 s33, s8
	s_cbranch_execnz .LBB60_74
.LBB60_42:                              ;   in Loop: Header=BB60_33 Depth=1
	s_or_b32 exec_lo, exec_lo, s33
	s_and_saveexec_b32 s33, s9
	s_cbranch_execnz .LBB60_75
.LBB60_43:                              ;   in Loop: Header=BB60_33 Depth=1
	s_or_b32 exec_lo, exec_lo, s33
	s_and_saveexec_b32 s33, s10
	s_cbranch_execnz .LBB60_76
.LBB60_44:                              ;   in Loop: Header=BB60_33 Depth=1
	s_or_b32 exec_lo, exec_lo, s33
	s_and_saveexec_b32 s33, s11
	s_cbranch_execnz .LBB60_77
.LBB60_45:                              ;   in Loop: Header=BB60_33 Depth=1
	s_or_b32 exec_lo, exec_lo, s33
	s_and_saveexec_b32 s33, s12
	s_cbranch_execnz .LBB60_78
.LBB60_46:                              ;   in Loop: Header=BB60_33 Depth=1
	s_or_b32 exec_lo, exec_lo, s33
	s_and_saveexec_b32 s33, s13
	s_cbranch_execnz .LBB60_79
.LBB60_47:                              ;   in Loop: Header=BB60_33 Depth=1
	s_or_b32 exec_lo, exec_lo, s33
	s_and_saveexec_b32 s33, s14
	s_cbranch_execnz .LBB60_80
.LBB60_48:                              ;   in Loop: Header=BB60_33 Depth=1
	s_or_b32 exec_lo, exec_lo, s33
	s_and_saveexec_b32 s33, s15
	s_cbranch_execnz .LBB60_81
.LBB60_49:                              ;   in Loop: Header=BB60_33 Depth=1
	s_or_b32 exec_lo, exec_lo, s33
	s_and_saveexec_b32 s33, s16
	s_cbranch_execnz .LBB60_82
.LBB60_50:                              ;   in Loop: Header=BB60_33 Depth=1
	s_or_b32 exec_lo, exec_lo, s33
	s_and_saveexec_b32 s33, s17
	s_cbranch_execnz .LBB60_83
.LBB60_51:                              ;   in Loop: Header=BB60_33 Depth=1
	s_or_b32 exec_lo, exec_lo, s33
	s_and_saveexec_b32 s33, s18
	s_cbranch_execnz .LBB60_84
.LBB60_52:                              ;   in Loop: Header=BB60_33 Depth=1
	s_or_b32 exec_lo, exec_lo, s33
	s_and_saveexec_b32 s33, s19
	s_cbranch_execnz .LBB60_85
.LBB60_53:                              ;   in Loop: Header=BB60_33 Depth=1
	s_or_b32 exec_lo, exec_lo, s33
	s_and_saveexec_b32 s33, s20
	s_cbranch_execnz .LBB60_86
.LBB60_54:                              ;   in Loop: Header=BB60_33 Depth=1
	s_or_b32 exec_lo, exec_lo, s33
	s_and_saveexec_b32 s33, s21
	s_cbranch_execnz .LBB60_87
.LBB60_55:                              ;   in Loop: Header=BB60_33 Depth=1
	s_or_b32 exec_lo, exec_lo, s33
	s_and_saveexec_b32 s33, s22
	s_cbranch_execnz .LBB60_88
.LBB60_56:                              ;   in Loop: Header=BB60_33 Depth=1
	s_or_b32 exec_lo, exec_lo, s33
	s_and_saveexec_b32 s33, s23
	s_cbranch_execnz .LBB60_89
.LBB60_57:                              ;   in Loop: Header=BB60_33 Depth=1
	s_or_b32 exec_lo, exec_lo, s33
	s_and_saveexec_b32 s33, s24
	s_cbranch_execnz .LBB60_90
.LBB60_58:                              ;   in Loop: Header=BB60_33 Depth=1
	s_or_b32 exec_lo, exec_lo, s33
	s_and_saveexec_b32 s33, s25
	s_cbranch_execnz .LBB60_91
.LBB60_59:                              ;   in Loop: Header=BB60_33 Depth=1
	s_or_b32 exec_lo, exec_lo, s33
	s_and_saveexec_b32 s33, s26
	s_cbranch_execnz .LBB60_92
.LBB60_60:                              ;   in Loop: Header=BB60_33 Depth=1
	s_or_b32 exec_lo, exec_lo, s33
	s_and_saveexec_b32 s33, s27
	s_cbranch_execnz .LBB60_93
.LBB60_61:                              ;   in Loop: Header=BB60_33 Depth=1
	s_or_b32 exec_lo, exec_lo, s33
	s_and_saveexec_b32 s33, s28
	s_cbranch_execnz .LBB60_94
.LBB60_62:                              ;   in Loop: Header=BB60_33 Depth=1
	s_or_b32 exec_lo, exec_lo, s33
	s_and_saveexec_b32 s33, s29
	s_cbranch_execnz .LBB60_95
.LBB60_63:                              ;   in Loop: Header=BB60_33 Depth=1
	s_or_b32 exec_lo, exec_lo, s33
	s_and_saveexec_b32 s33, s30
	s_cbranch_execnz .LBB60_96
.LBB60_64:                              ;   in Loop: Header=BB60_33 Depth=1
	s_or_b32 exec_lo, exec_lo, s33
	v_ashrrev_i32_e32 v8, 31, v7
	s_and_saveexec_b32 s33, s31
	s_cbranch_execnz .LBB60_97
.LBB60_65:                              ;   in Loop: Header=BB60_33 Depth=1
	s_or_b32 exec_lo, exec_lo, s33
	s_and_saveexec_b32 s31, vcc_lo
	s_cbranch_execz .LBB60_32
	s_branch .LBB60_98
.LBB60_66:                              ;   in Loop: Header=BB60_33 Depth=1
	ds_read_b32 v1, v2 offset:32768
	s_waitcnt lgkmcnt(0)
	v_add_nc_u32_e32 v7, v1, v7
	s_or_b32 exec_lo, exec_lo, s33
	s_and_saveexec_b32 s33, s1
	s_cbranch_execz .LBB60_35
.LBB60_67:                              ;   in Loop: Header=BB60_33 Depth=1
	ds_read_b32 v1, v2 offset:32776
	s_waitcnt lgkmcnt(0)
	v_add_nc_u32_e32 v7, v7, v1
	s_or_b32 exec_lo, exec_lo, s33
	s_and_saveexec_b32 s33, s2
	s_cbranch_execz .LBB60_36
.LBB60_68:                              ;   in Loop: Header=BB60_33 Depth=1
	ds_read_b32 v1, v2 offset:32784
	s_waitcnt lgkmcnt(0)
	v_add_nc_u32_e32 v7, v7, v1
	s_or_b32 exec_lo, exec_lo, s33
	s_and_saveexec_b32 s33, s3
	s_cbranch_execz .LBB60_37
.LBB60_69:                              ;   in Loop: Header=BB60_33 Depth=1
	ds_read_b32 v1, v2 offset:32792
	s_waitcnt lgkmcnt(0)
	v_add_nc_u32_e32 v7, v7, v1
	s_or_b32 exec_lo, exec_lo, s33
	s_and_saveexec_b32 s33, s4
	s_cbranch_execz .LBB60_38
.LBB60_70:                              ;   in Loop: Header=BB60_33 Depth=1
	ds_read_b32 v1, v2 offset:32800
	s_waitcnt lgkmcnt(0)
	v_add_nc_u32_e32 v7, v7, v1
	s_or_b32 exec_lo, exec_lo, s33
	s_and_saveexec_b32 s33, s5
	s_cbranch_execz .LBB60_39
.LBB60_71:                              ;   in Loop: Header=BB60_33 Depth=1
	ds_read_b32 v1, v2 offset:32808
	s_waitcnt lgkmcnt(0)
	v_add_nc_u32_e32 v7, v7, v1
	s_or_b32 exec_lo, exec_lo, s33
	s_and_saveexec_b32 s33, s6
	s_cbranch_execz .LBB60_40
.LBB60_72:                              ;   in Loop: Header=BB60_33 Depth=1
	ds_read_b32 v1, v2 offset:32816
	s_waitcnt lgkmcnt(0)
	v_add_nc_u32_e32 v7, v7, v1
	s_or_b32 exec_lo, exec_lo, s33
	s_and_saveexec_b32 s33, s7
	s_cbranch_execz .LBB60_41
.LBB60_73:                              ;   in Loop: Header=BB60_33 Depth=1
	ds_read_b32 v1, v2 offset:32824
	s_waitcnt lgkmcnt(0)
	v_add_nc_u32_e32 v7, v7, v1
	s_or_b32 exec_lo, exec_lo, s33
	s_and_saveexec_b32 s33, s8
	s_cbranch_execz .LBB60_42
.LBB60_74:                              ;   in Loop: Header=BB60_33 Depth=1
	ds_read_b32 v1, v2 offset:32832
	s_waitcnt lgkmcnt(0)
	v_add_nc_u32_e32 v7, v7, v1
	s_or_b32 exec_lo, exec_lo, s33
	s_and_saveexec_b32 s33, s9
	s_cbranch_execz .LBB60_43
.LBB60_75:                              ;   in Loop: Header=BB60_33 Depth=1
	ds_read_b32 v1, v2 offset:32840
	s_waitcnt lgkmcnt(0)
	v_add_nc_u32_e32 v7, v7, v1
	s_or_b32 exec_lo, exec_lo, s33
	s_and_saveexec_b32 s33, s10
	s_cbranch_execz .LBB60_44
.LBB60_76:                              ;   in Loop: Header=BB60_33 Depth=1
	ds_read_b32 v1, v2 offset:32848
	s_waitcnt lgkmcnt(0)
	v_add_nc_u32_e32 v7, v7, v1
	s_or_b32 exec_lo, exec_lo, s33
	s_and_saveexec_b32 s33, s11
	s_cbranch_execz .LBB60_45
.LBB60_77:                              ;   in Loop: Header=BB60_33 Depth=1
	ds_read_b32 v1, v2 offset:32856
	s_waitcnt lgkmcnt(0)
	v_add_nc_u32_e32 v7, v7, v1
	s_or_b32 exec_lo, exec_lo, s33
	s_and_saveexec_b32 s33, s12
	s_cbranch_execz .LBB60_46
.LBB60_78:                              ;   in Loop: Header=BB60_33 Depth=1
	ds_read_b32 v1, v2 offset:32864
	s_waitcnt lgkmcnt(0)
	v_add_nc_u32_e32 v7, v7, v1
	s_or_b32 exec_lo, exec_lo, s33
	s_and_saveexec_b32 s33, s13
	s_cbranch_execz .LBB60_47
.LBB60_79:                              ;   in Loop: Header=BB60_33 Depth=1
	ds_read_b32 v1, v2 offset:32872
	s_waitcnt lgkmcnt(0)
	v_add_nc_u32_e32 v7, v7, v1
	s_or_b32 exec_lo, exec_lo, s33
	s_and_saveexec_b32 s33, s14
	s_cbranch_execz .LBB60_48
.LBB60_80:                              ;   in Loop: Header=BB60_33 Depth=1
	ds_read_b32 v1, v2 offset:32880
	s_waitcnt lgkmcnt(0)
	v_add_nc_u32_e32 v7, v7, v1
	s_or_b32 exec_lo, exec_lo, s33
	s_and_saveexec_b32 s33, s15
	s_cbranch_execz .LBB60_49
.LBB60_81:                              ;   in Loop: Header=BB60_33 Depth=1
	ds_read_b32 v1, v2 offset:32888
	s_waitcnt lgkmcnt(0)
	v_add_nc_u32_e32 v7, v7, v1
	s_or_b32 exec_lo, exec_lo, s33
	s_and_saveexec_b32 s33, s16
	s_cbranch_execz .LBB60_50
.LBB60_82:                              ;   in Loop: Header=BB60_33 Depth=1
	ds_read_b32 v1, v2 offset:32896
	s_waitcnt lgkmcnt(0)
	v_add_nc_u32_e32 v7, v7, v1
	s_or_b32 exec_lo, exec_lo, s33
	s_and_saveexec_b32 s33, s17
	s_cbranch_execz .LBB60_51
.LBB60_83:                              ;   in Loop: Header=BB60_33 Depth=1
	ds_read_b32 v1, v2 offset:32904
	s_waitcnt lgkmcnt(0)
	v_add_nc_u32_e32 v7, v7, v1
	s_or_b32 exec_lo, exec_lo, s33
	s_and_saveexec_b32 s33, s18
	s_cbranch_execz .LBB60_52
.LBB60_84:                              ;   in Loop: Header=BB60_33 Depth=1
	ds_read_b32 v1, v2 offset:32912
	s_waitcnt lgkmcnt(0)
	v_add_nc_u32_e32 v7, v7, v1
	s_or_b32 exec_lo, exec_lo, s33
	s_and_saveexec_b32 s33, s19
	s_cbranch_execz .LBB60_53
.LBB60_85:                              ;   in Loop: Header=BB60_33 Depth=1
	ds_read_b32 v1, v2 offset:32920
	s_waitcnt lgkmcnt(0)
	v_add_nc_u32_e32 v7, v7, v1
	s_or_b32 exec_lo, exec_lo, s33
	s_and_saveexec_b32 s33, s20
	s_cbranch_execz .LBB60_54
.LBB60_86:                              ;   in Loop: Header=BB60_33 Depth=1
	ds_read_b32 v1, v2 offset:32928
	s_waitcnt lgkmcnt(0)
	v_add_nc_u32_e32 v7, v7, v1
	s_or_b32 exec_lo, exec_lo, s33
	s_and_saveexec_b32 s33, s21
	s_cbranch_execz .LBB60_55
.LBB60_87:                              ;   in Loop: Header=BB60_33 Depth=1
	ds_read_b32 v1, v2 offset:32936
	s_waitcnt lgkmcnt(0)
	v_add_nc_u32_e32 v7, v7, v1
	s_or_b32 exec_lo, exec_lo, s33
	s_and_saveexec_b32 s33, s22
	s_cbranch_execz .LBB60_56
.LBB60_88:                              ;   in Loop: Header=BB60_33 Depth=1
	ds_read_b32 v1, v2 offset:32944
	s_waitcnt lgkmcnt(0)
	v_add_nc_u32_e32 v7, v7, v1
	s_or_b32 exec_lo, exec_lo, s33
	s_and_saveexec_b32 s33, s23
	s_cbranch_execz .LBB60_57
.LBB60_89:                              ;   in Loop: Header=BB60_33 Depth=1
	ds_read_b32 v1, v2 offset:32952
	s_waitcnt lgkmcnt(0)
	v_add_nc_u32_e32 v7, v7, v1
	s_or_b32 exec_lo, exec_lo, s33
	s_and_saveexec_b32 s33, s24
	s_cbranch_execz .LBB60_58
.LBB60_90:                              ;   in Loop: Header=BB60_33 Depth=1
	ds_read_b32 v1, v2 offset:32960
	s_waitcnt lgkmcnt(0)
	v_add_nc_u32_e32 v7, v7, v1
	s_or_b32 exec_lo, exec_lo, s33
	s_and_saveexec_b32 s33, s25
	s_cbranch_execz .LBB60_59
.LBB60_91:                              ;   in Loop: Header=BB60_33 Depth=1
	ds_read_b32 v1, v2 offset:32968
	s_waitcnt lgkmcnt(0)
	v_add_nc_u32_e32 v7, v7, v1
	s_or_b32 exec_lo, exec_lo, s33
	s_and_saveexec_b32 s33, s26
	s_cbranch_execz .LBB60_60
.LBB60_92:                              ;   in Loop: Header=BB60_33 Depth=1
	ds_read_b32 v1, v2 offset:32976
	s_waitcnt lgkmcnt(0)
	v_add_nc_u32_e32 v7, v7, v1
	s_or_b32 exec_lo, exec_lo, s33
	s_and_saveexec_b32 s33, s27
	s_cbranch_execz .LBB60_61
.LBB60_93:                              ;   in Loop: Header=BB60_33 Depth=1
	ds_read_b32 v1, v2 offset:32984
	s_waitcnt lgkmcnt(0)
	v_add_nc_u32_e32 v7, v7, v1
	s_or_b32 exec_lo, exec_lo, s33
	s_and_saveexec_b32 s33, s28
	s_cbranch_execz .LBB60_62
.LBB60_94:                              ;   in Loop: Header=BB60_33 Depth=1
	ds_read_b32 v1, v2 offset:32992
	s_waitcnt lgkmcnt(0)
	v_add_nc_u32_e32 v7, v7, v1
	s_or_b32 exec_lo, exec_lo, s33
	s_and_saveexec_b32 s33, s29
	s_cbranch_execz .LBB60_63
.LBB60_95:                              ;   in Loop: Header=BB60_33 Depth=1
	ds_read_b32 v1, v2 offset:33000
	s_waitcnt lgkmcnt(0)
	v_add_nc_u32_e32 v7, v7, v1
	s_or_b32 exec_lo, exec_lo, s33
	s_and_saveexec_b32 s33, s30
	s_cbranch_execz .LBB60_64
.LBB60_96:                              ;   in Loop: Header=BB60_33 Depth=1
	ds_read_b32 v1, v2 offset:33008
	s_waitcnt lgkmcnt(0)
	v_add_nc_u32_e32 v7, v7, v1
	s_or_b32 exec_lo, exec_lo, s33
	v_ashrrev_i32_e32 v8, 31, v7
	s_and_saveexec_b32 s33, s31
	s_cbranch_execz .LBB60_65
.LBB60_97:                              ;   in Loop: Header=BB60_33 Depth=1
	v_lshlrev_b32_e32 v1, 3, v3
	v_lshlrev_b32_e32 v13, 3, v7
	v_add_nc_u32_e32 v1, 0, v1
	v_add3_u32 v1, v1, v13, -8
	ds_write_b64 v1, v[5:6]
	s_or_b32 exec_lo, exec_lo, s33
	s_and_saveexec_b32 s31, vcc_lo
	s_cbranch_execz .LBB60_32
.LBB60_98:                              ;   in Loop: Header=BB60_33 Depth=1
	ds_write_b64 v2, v[7:8] offset:33016
	s_branch .LBB60_32
.LBB60_99:
	s_or_b32 exec_lo, exec_lo, s40
	s_lshl_b64 s[0:1], s[38:39], 3
	v_mov_b32_e32 v1, 0
	s_add_u32 s0, s50, s0
	s_addc_u32 s1, s51, s1
	s_mov_b32 s6, exec_lo
	s_load_dwordx4 s[0:3], s[0:1], 0x0
	s_waitcnt lgkmcnt(0)
	s_sub_u32 s4, s2, s0
	s_subb_u32 s5, s3, s1
	v_cmpx_gt_i64_e64 s[4:5], v[0:1]
	s_cbranch_execz .LBB60_109
; %bb.100:
	s_sub_u32 s8, s0, s46
	s_subb_u32 s9, s1, 0
	s_and_b32 s6, s4, 7
	s_sub_u32 s0, s0, s2
	s_subb_u32 s1, s1, s3
	s_mov_b32 s7, 0
	v_cmp_lt_u64_e64 s12, s[0:1], -7
	s_and_b32 s2, s4, -8
	s_cmp_lg_u64 s[6:7], 0
	s_mov_b32 s3, s5
	s_cselect_b32 s13, -1, 0
	s_mov_b32 s14, s7
	s_branch .LBB60_102
.LBB60_101:                             ;   in Loop: Header=BB60_102 Depth=1
	v_add_co_u32 v0, vcc_lo, 0x400, v0
	v_lshlrev_b64 v[4:5], 3, v[4:5]
	v_add_co_ci_u32_e64 v1, null, 0, v1, vcc_lo
	s_waitcnt lgkmcnt(0)
	v_add_co_u32 v2, vcc_lo, v2, s46
	v_add_co_ci_u32_e64 v3, null, 0, v3, vcc_lo
	v_cmp_le_i64_e32 vcc_lo, s[4:5], v[0:1]
	v_add_co_u32 v4, s0, s34, v4
	v_add_co_ci_u32_e64 v5, null, s35, v5, s0
	s_or_b32 s14, vcc_lo, s14
	global_store_dwordx2 v[4:5], v[2:3], off
	s_andn2_b32 exec_lo, exec_lo, s14
	s_cbranch_execz .LBB60_109
.LBB60_102:                             ; =>This Loop Header: Depth=1
                                        ;     Child Loop BB60_104 Depth 2
                                        ;     Child Loop BB60_108 Depth 2
	v_lshl_add_u32 v2, v0, 3, 0
	v_mov_b32_e32 v4, s8
	v_mov_b32_e32 v5, s9
	s_andn2_b32 vcc_lo, exec_lo, s12
	s_mov_b64 s[0:1], 0
	ds_read_b64 v[2:3], v2
	s_cbranch_vccnz .LBB60_106
; %bb.103:                              ;   in Loop: Header=BB60_102 Depth=1
	v_mov_b32_e32 v4, s8
	v_mov_b32_e32 v5, s9
	s_mov_b64 s[10:11], 0
	s_mov_b32 s1, 0
.LBB60_104:                             ;   Parent Loop BB60_102 Depth=1
                                        ; =>  This Inner Loop Header: Depth=2
	v_mov_b32_e32 v18, s1
	s_add_u32 s10, s10, 8
	s_addc_u32 s11, s11, 0
	s_add_i32 s1, s1, 64
	s_cmp_eq_u64 s[2:3], s[10:11]
	ds_read2_b64 v[6:9], v18 offset1:1
	ds_read2_b64 v[10:13], v18 offset0:2 offset1:3
	ds_read2_b64 v[14:17], v18 offset0:4 offset1:5
	ds_read2_b64 v[18:21], v18 offset0:6 offset1:7
	s_waitcnt lgkmcnt(3)
	v_cmp_gt_i64_e32 vcc_lo, v[2:3], v[6:7]
	v_cndmask_b32_e64 v6, 0, 1, vcc_lo
	v_cmp_gt_i64_e32 vcc_lo, v[2:3], v[8:9]
	v_cndmask_b32_e64 v7, 0, 1, vcc_lo
	s_waitcnt lgkmcnt(2)
	v_cmp_gt_i64_e32 vcc_lo, v[2:3], v[10:11]
	v_cndmask_b32_e64 v8, 0, 1, vcc_lo
	v_cmp_gt_i64_e32 vcc_lo, v[2:3], v[12:13]
	v_cndmask_b32_e64 v9, 0, 1, vcc_lo
	s_waitcnt lgkmcnt(1)
	v_cmp_gt_i64_e32 vcc_lo, v[2:3], v[14:15]
	v_cndmask_b32_e64 v10, 0, 1, vcc_lo
	v_add_co_u32 v4, vcc_lo, v4, v6
	v_add_co_ci_u32_e64 v5, null, 0, v5, vcc_lo
	v_cmp_gt_i64_e32 vcc_lo, v[2:3], v[16:17]
	v_add_co_u32 v4, s0, v4, v7
	v_add_co_ci_u32_e64 v5, null, 0, v5, s0
	v_cndmask_b32_e64 v6, 0, 1, vcc_lo
	v_add_co_u32 v4, vcc_lo, v4, v8
	v_add_co_ci_u32_e64 v5, null, 0, v5, vcc_lo
	s_waitcnt lgkmcnt(0)
	v_cmp_gt_i64_e32 vcc_lo, v[2:3], v[18:19]
	v_add_co_u32 v4, s0, v4, v9
	v_add_co_ci_u32_e64 v5, null, 0, v5, s0
	v_cndmask_b32_e64 v7, 0, 1, vcc_lo
	v_add_co_u32 v4, vcc_lo, v4, v10
	v_add_co_ci_u32_e64 v5, null, 0, v5, vcc_lo
	v_cmp_gt_i64_e32 vcc_lo, v[2:3], v[20:21]
	v_add_co_u32 v4, s0, v4, v6
	v_add_co_ci_u32_e64 v5, null, 0, v5, s0
	v_cndmask_b32_e64 v6, 0, 1, vcc_lo
	v_add_co_u32 v4, vcc_lo, v4, v7
	v_add_co_ci_u32_e64 v5, null, 0, v5, vcc_lo
	v_add_co_u32 v4, vcc_lo, v4, v6
	v_add_co_ci_u32_e64 v5, null, 0, v5, vcc_lo
	s_cbranch_scc0 .LBB60_104
; %bb.105:                              ;   in Loop: Header=BB60_102 Depth=1
	s_mov_b64 s[0:1], s[2:3]
.LBB60_106:                             ;   in Loop: Header=BB60_102 Depth=1
	s_andn2_b32 vcc_lo, exec_lo, s13
	s_cbranch_vccnz .LBB60_101
; %bb.107:                              ;   in Loop: Header=BB60_102 Depth=1
	s_lshl_b32 s0, s0, 3
	s_add_i32 s10, s0, 0
	s_mov_b64 s[0:1], s[6:7]
.LBB60_108:                             ;   Parent Loop BB60_102 Depth=1
                                        ; =>  This Inner Loop Header: Depth=2
	v_mov_b32_e32 v6, s10
	s_add_i32 s10, s10, 8
	s_add_u32 s0, s0, -1
	s_addc_u32 s1, s1, -1
	s_cmp_lg_u64 s[0:1], 0
	ds_read_b64 v[6:7], v6
	s_waitcnt lgkmcnt(0)
	v_cmp_gt_i64_e32 vcc_lo, v[2:3], v[6:7]
	v_cndmask_b32_e64 v6, 0, 1, vcc_lo
	v_add_co_u32 v4, vcc_lo, v4, v6
	v_add_co_ci_u32_e64 v5, null, 0, v5, vcc_lo
	s_cbranch_scc1 .LBB60_108
	s_branch .LBB60_101
.LBB60_109:
	s_endpgm
	.section	.rodata,"a",@progbits
	.p2align	6, 0x0
	.amdhsa_kernel _ZN9rocsparseL35csrgemm_symbolic_fill_block_per_rowILj1024ELj64ELj4096ELj137ELj32EllEEvT5_PKS1_S3_PKT4_S3_S6_S3_S6_S3_S6_PS1_21rocsparse_index_base_S8_S8_S8_bb
		.amdhsa_group_segment_fixed_size 0
		.amdhsa_private_segment_fixed_size 0
		.amdhsa_kernarg_size 108
		.amdhsa_user_sgpr_count 6
		.amdhsa_user_sgpr_private_segment_buffer 1
		.amdhsa_user_sgpr_dispatch_ptr 0
		.amdhsa_user_sgpr_queue_ptr 0
		.amdhsa_user_sgpr_kernarg_segment_ptr 1
		.amdhsa_user_sgpr_dispatch_id 0
		.amdhsa_user_sgpr_flat_scratch_init 0
		.amdhsa_user_sgpr_private_segment_size 0
		.amdhsa_wavefront_size32 1
		.amdhsa_uses_dynamic_stack 0
		.amdhsa_system_sgpr_private_segment_wavefront_offset 0
		.amdhsa_system_sgpr_workgroup_id_x 1
		.amdhsa_system_sgpr_workgroup_id_y 0
		.amdhsa_system_sgpr_workgroup_id_z 0
		.amdhsa_system_sgpr_workgroup_info 0
		.amdhsa_system_vgpr_workitem_id 0
		.amdhsa_next_free_vgpr 22
		.amdhsa_next_free_sgpr 52
		.amdhsa_reserve_vcc 1
		.amdhsa_reserve_flat_scratch 0
		.amdhsa_float_round_mode_32 0
		.amdhsa_float_round_mode_16_64 0
		.amdhsa_float_denorm_mode_32 3
		.amdhsa_float_denorm_mode_16_64 3
		.amdhsa_dx10_clamp 1
		.amdhsa_ieee_mode 1
		.amdhsa_fp16_overflow 0
		.amdhsa_workgroup_processor_mode 1
		.amdhsa_memory_ordered 1
		.amdhsa_forward_progress 1
		.amdhsa_shared_vgpr_count 0
		.amdhsa_exception_fp_ieee_invalid_op 0
		.amdhsa_exception_fp_denorm_src 0
		.amdhsa_exception_fp_ieee_div_zero 0
		.amdhsa_exception_fp_ieee_overflow 0
		.amdhsa_exception_fp_ieee_underflow 0
		.amdhsa_exception_fp_ieee_inexact 0
		.amdhsa_exception_int_div_zero 0
	.end_amdhsa_kernel
	.section	.text._ZN9rocsparseL35csrgemm_symbolic_fill_block_per_rowILj1024ELj64ELj4096ELj137ELj32EllEEvT5_PKS1_S3_PKT4_S3_S6_S3_S6_S3_S6_PS1_21rocsparse_index_base_S8_S8_S8_bb,"axG",@progbits,_ZN9rocsparseL35csrgemm_symbolic_fill_block_per_rowILj1024ELj64ELj4096ELj137ELj32EllEEvT5_PKS1_S3_PKT4_S3_S6_S3_S6_S3_S6_PS1_21rocsparse_index_base_S8_S8_S8_bb,comdat
.Lfunc_end60:
	.size	_ZN9rocsparseL35csrgemm_symbolic_fill_block_per_rowILj1024ELj64ELj4096ELj137ELj32EllEEvT5_PKS1_S3_PKT4_S3_S6_S3_S6_S3_S6_PS1_21rocsparse_index_base_S8_S8_S8_bb, .Lfunc_end60-_ZN9rocsparseL35csrgemm_symbolic_fill_block_per_rowILj1024ELj64ELj4096ELj137ELj32EllEEvT5_PKS1_S3_PKT4_S3_S6_S3_S6_S3_S6_PS1_21rocsparse_index_base_S8_S8_S8_bb
                                        ; -- End function
	.set _ZN9rocsparseL35csrgemm_symbolic_fill_block_per_rowILj1024ELj64ELj4096ELj137ELj32EllEEvT5_PKS1_S3_PKT4_S3_S6_S3_S6_S3_S6_PS1_21rocsparse_index_base_S8_S8_S8_bb.num_vgpr, 22
	.set _ZN9rocsparseL35csrgemm_symbolic_fill_block_per_rowILj1024ELj64ELj4096ELj137ELj32EllEEvT5_PKS1_S3_PKT4_S3_S6_S3_S6_S3_S6_PS1_21rocsparse_index_base_S8_S8_S8_bb.num_agpr, 0
	.set _ZN9rocsparseL35csrgemm_symbolic_fill_block_per_rowILj1024ELj64ELj4096ELj137ELj32EllEEvT5_PKS1_S3_PKT4_S3_S6_S3_S6_S3_S6_PS1_21rocsparse_index_base_S8_S8_S8_bb.numbered_sgpr, 52
	.set _ZN9rocsparseL35csrgemm_symbolic_fill_block_per_rowILj1024ELj64ELj4096ELj137ELj32EllEEvT5_PKS1_S3_PKT4_S3_S6_S3_S6_S3_S6_PS1_21rocsparse_index_base_S8_S8_S8_bb.num_named_barrier, 0
	.set _ZN9rocsparseL35csrgemm_symbolic_fill_block_per_rowILj1024ELj64ELj4096ELj137ELj32EllEEvT5_PKS1_S3_PKT4_S3_S6_S3_S6_S3_S6_PS1_21rocsparse_index_base_S8_S8_S8_bb.private_seg_size, 0
	.set _ZN9rocsparseL35csrgemm_symbolic_fill_block_per_rowILj1024ELj64ELj4096ELj137ELj32EllEEvT5_PKS1_S3_PKT4_S3_S6_S3_S6_S3_S6_PS1_21rocsparse_index_base_S8_S8_S8_bb.uses_vcc, 1
	.set _ZN9rocsparseL35csrgemm_symbolic_fill_block_per_rowILj1024ELj64ELj4096ELj137ELj32EllEEvT5_PKS1_S3_PKT4_S3_S6_S3_S6_S3_S6_PS1_21rocsparse_index_base_S8_S8_S8_bb.uses_flat_scratch, 0
	.set _ZN9rocsparseL35csrgemm_symbolic_fill_block_per_rowILj1024ELj64ELj4096ELj137ELj32EllEEvT5_PKS1_S3_PKT4_S3_S6_S3_S6_S3_S6_PS1_21rocsparse_index_base_S8_S8_S8_bb.has_dyn_sized_stack, 0
	.set _ZN9rocsparseL35csrgemm_symbolic_fill_block_per_rowILj1024ELj64ELj4096ELj137ELj32EllEEvT5_PKS1_S3_PKT4_S3_S6_S3_S6_S3_S6_PS1_21rocsparse_index_base_S8_S8_S8_bb.has_recursion, 0
	.set _ZN9rocsparseL35csrgemm_symbolic_fill_block_per_rowILj1024ELj64ELj4096ELj137ELj32EllEEvT5_PKS1_S3_PKT4_S3_S6_S3_S6_S3_S6_PS1_21rocsparse_index_base_S8_S8_S8_bb.has_indirect_call, 0
	.section	.AMDGPU.csdata,"",@progbits
; Kernel info:
; codeLenInByte = 3888
; TotalNumSgprs: 54
; NumVgprs: 22
; ScratchSize: 0
; MemoryBound: 0
; FloatMode: 240
; IeeeMode: 1
; LDSByteSize: 0 bytes/workgroup (compile time only)
; SGPRBlocks: 0
; VGPRBlocks: 2
; NumSGPRsForWavesPerEU: 54
; NumVGPRsForWavesPerEU: 22
; Occupancy: 16
; WaveLimiterHint : 1
; COMPUTE_PGM_RSRC2:SCRATCH_EN: 0
; COMPUTE_PGM_RSRC2:USER_SGPR: 6
; COMPUTE_PGM_RSRC2:TRAP_HANDLER: 0
; COMPUTE_PGM_RSRC2:TGID_X_EN: 1
; COMPUTE_PGM_RSRC2:TGID_Y_EN: 0
; COMPUTE_PGM_RSRC2:TGID_Z_EN: 0
; COMPUTE_PGM_RSRC2:TIDIG_COMP_CNT: 0
	.section	.text._ZN9rocsparseL35csrgemm_symbolic_fill_block_per_rowILj1024ELj64ELj4096ELj137ELj64EllEEvT5_PKS1_S3_PKT4_S3_S6_S3_S6_S3_S6_PS1_21rocsparse_index_base_S8_S8_S8_bb,"axG",@progbits,_ZN9rocsparseL35csrgemm_symbolic_fill_block_per_rowILj1024ELj64ELj4096ELj137ELj64EllEEvT5_PKS1_S3_PKT4_S3_S6_S3_S6_S3_S6_PS1_21rocsparse_index_base_S8_S8_S8_bb,comdat
	.globl	_ZN9rocsparseL35csrgemm_symbolic_fill_block_per_rowILj1024ELj64ELj4096ELj137ELj64EllEEvT5_PKS1_S3_PKT4_S3_S6_S3_S6_S3_S6_PS1_21rocsparse_index_base_S8_S8_S8_bb ; -- Begin function _ZN9rocsparseL35csrgemm_symbolic_fill_block_per_rowILj1024ELj64ELj4096ELj137ELj64EllEEvT5_PKS1_S3_PKT4_S3_S6_S3_S6_S3_S6_PS1_21rocsparse_index_base_S8_S8_S8_bb
	.p2align	8
	.type	_ZN9rocsparseL35csrgemm_symbolic_fill_block_per_rowILj1024ELj64ELj4096ELj137ELj64EllEEvT5_PKS1_S3_PKT4_S3_S6_S3_S6_S3_S6_PS1_21rocsparse_index_base_S8_S8_S8_bb,@function
_ZN9rocsparseL35csrgemm_symbolic_fill_block_per_rowILj1024ELj64ELj4096ELj137ELj64EllEEvT5_PKS1_S3_PKT4_S3_S6_S3_S6_S3_S6_PS1_21rocsparse_index_base_S8_S8_S8_bb: ; @_ZN9rocsparseL35csrgemm_symbolic_fill_block_per_rowILj1024ELj64ELj4096ELj137ELj64EllEEvT5_PKS1_S3_PKT4_S3_S6_S3_S6_S3_S6_PS1_21rocsparse_index_base_S8_S8_S8_bb
; %bb.0:
	s_clause 0x3
	s_load_dwordx8 s[20:27], s[4:5], 0x0
	s_load_dwordx2 s[34:35], s[4:5], 0x50
	s_load_dwordx4 s[28:31], s[4:5], 0x40
	s_load_dwordx8 s[8:15], s[4:5], 0x20
	v_lshl_add_u32 v11, v0, 3, 0
	v_or_b32_e32 v12, 0xfffffc00, v0
	s_mov_b32 s0, 0
	v_mov_b32_e32 v3, v11
	v_mov_b32_e32 v4, v12
	s_waitcnt lgkmcnt(0)
	v_mov_b32_e32 v1, s20
	v_mov_b32_e32 v2, s21
.LBB61_1:                               ; =>This Inner Loop Header: Depth=1
	v_add_nc_u32_e32 v4, 0x400, v4
	ds_write_b64 v3, v[1:2]
	v_add_nc_u32_e32 v3, 0x2000, v3
	v_cmp_lt_u32_e32 vcc_lo, 0xbff, v4
	s_or_b32 s0, vcc_lo, s0
	s_andn2_b32 exec_lo, exec_lo, s0
	s_cbranch_execnz .LBB61_1
; %bb.2:
	s_or_b32 exec_lo, exec_lo, s0
	s_load_dword s2, s[4:5], 0x68
	s_waitcnt lgkmcnt(0)
	s_barrier
	buffer_gl0_inv
	s_load_dwordx2 s[0:1], s[22:23], 0x0
	s_mov_b32 s7, 0
	v_lshrrev_b32_e32 v13, 6, v0
	s_bitcmp1_b32 s2, 0
	s_cselect_b32 s3, -1, 0
	s_waitcnt lgkmcnt(0)
	s_lshl_b64 s[0:1], s[0:1], 3
	s_add_u32 s16, s24, s0
	s_addc_u32 s17, s25, s1
	s_lshl_b64 s[0:1], s[6:7], 3
	s_add_u32 s0, s16, s0
	s_addc_u32 s1, s17, s1
	s_load_dwordx4 s[16:19], s[4:5], 0x58
	s_load_dwordx2 s[22:23], s[0:1], 0x0
	s_and_b32 vcc_lo, exec_lo, s3
	s_cbranch_vccz .LBB61_18
; %bb.3:
	s_waitcnt lgkmcnt(0)
	s_lshl_b64 s[0:1], s[22:23], 3
	s_mov_b32 s3, exec_lo
	s_add_u32 s0, s26, s0
	s_addc_u32 s1, s27, s1
	s_load_dwordx4 s[4:7], s[0:1], 0x0
	v_sub_co_u32 v1, s0, v13, s16
	v_sub_co_ci_u32_e64 v2, null, 0, 0, s0
	s_waitcnt lgkmcnt(0)
	v_add_co_u32 v1, vcc_lo, s4, v1
	v_add_co_ci_u32_e64 v2, null, s5, v2, vcc_lo
	s_sub_u32 s0, s6, s16
	s_subb_u32 s1, s7, 0
	v_cmpx_gt_i64_e64 s[0:1], v[1:2]
	s_cbranch_execz .LBB61_17
; %bb.4:
	v_and_b32_e32 v3, 63, v0
	s_mov_b32 s5, s17
	v_sub_co_u32 v14, s4, v3, s17
	v_sub_co_ci_u32_e64 v15, null, 0, 0, s4
	s_mov_b32 s4, 0
	s_branch .LBB61_6
.LBB61_5:                               ;   in Loop: Header=BB61_6 Depth=1
	s_or_b32 exec_lo, exec_lo, s6
	v_add_co_u32 v1, vcc_lo, v1, 16
	v_add_co_ci_u32_e64 v2, null, 0, v2, vcc_lo
	v_cmp_le_i64_e32 vcc_lo, s[0:1], v[1:2]
	s_or_b32 s4, vcc_lo, s4
	s_andn2_b32 exec_lo, exec_lo, s4
	s_cbranch_execz .LBB61_17
.LBB61_6:                               ; =>This Loop Header: Depth=1
                                        ;     Child Loop BB61_9 Depth 2
                                        ;       Child Loop BB61_12 Depth 3
	v_lshlrev_b64 v[3:4], 3, v[1:2]
	s_mov_b32 s6, exec_lo
	v_add_co_u32 v3, vcc_lo, s8, v3
	v_add_co_ci_u32_e64 v4, null, s9, v4, vcc_lo
	global_load_dwordx2 v[3:4], v[3:4], off
	s_waitcnt vmcnt(0)
	v_sub_co_u32 v3, vcc_lo, v3, s16
	v_subrev_co_ci_u32_e64 v4, null, 0, v4, vcc_lo
	v_lshlrev_b64 v[3:4], 3, v[3:4]
	v_add_co_u32 v3, vcc_lo, s10, v3
	v_add_co_ci_u32_e64 v4, null, s11, v4, vcc_lo
	global_load_dwordx4 v[5:8], v[3:4], off
	s_waitcnt vmcnt(0)
	v_sub_co_u32 v3, vcc_lo, v7, s5
	v_subrev_co_ci_u32_e64 v4, null, 0, v8, vcc_lo
	v_add_co_u32 v5, vcc_lo, v5, v14
	v_add_co_ci_u32_e64 v6, null, v6, v15, vcc_lo
	v_cmpx_lt_i64_e64 v[5:6], v[3:4]
	s_cbranch_execz .LBB61_5
; %bb.7:                                ;   in Loop: Header=BB61_6 Depth=1
	s_mov_b32 s7, 0
	s_branch .LBB61_9
.LBB61_8:                               ;   in Loop: Header=BB61_9 Depth=2
	s_inst_prefetch 0x2
	s_or_b32 exec_lo, exec_lo, s17
	v_add_co_u32 v5, vcc_lo, v5, 64
	v_add_co_ci_u32_e64 v6, null, 0, v6, vcc_lo
	v_cmp_ge_i64_e32 vcc_lo, v[5:6], v[3:4]
	s_or_b32 s7, vcc_lo, s7
	s_andn2_b32 exec_lo, exec_lo, s7
	s_cbranch_execz .LBB61_5
.LBB61_9:                               ;   Parent Loop BB61_6 Depth=1
                                        ; =>  This Loop Header: Depth=2
                                        ;       Child Loop BB61_12 Depth 3
	v_lshlrev_b64 v[7:8], 3, v[5:6]
	s_mov_b32 s17, 0
                                        ; implicit-def: $sgpr24
	v_add_co_u32 v7, vcc_lo, s12, v7
	v_add_co_ci_u32_e64 v8, null, s13, v8, vcc_lo
	global_load_dwordx2 v[7:8], v[7:8], off
	s_waitcnt vmcnt(0)
	v_sub_co_u32 v7, vcc_lo, v7, s5
	v_subrev_co_ci_u32_e64 v8, null, 0, v8, vcc_lo
	v_mul_lo_u32 v9, 0x89, v7
	v_and_b32_e32 v16, 0xfff, v9
	s_inst_prefetch 0x1
	s_branch .LBB61_12
	.p2align	6
.LBB61_10:                              ;   in Loop: Header=BB61_12 Depth=3
	s_or_b32 exec_lo, exec_lo, s26
	s_andn2_b32 s24, s24, exec_lo
	s_and_b32 s26, s27, exec_lo
	s_or_b32 s24, s24, s26
.LBB61_11:                              ;   in Loop: Header=BB61_12 Depth=3
	s_or_b32 exec_lo, exec_lo, s25
	s_xor_b32 s25, s24, -1
	s_and_b32 s25, exec_lo, s25
	s_or_b32 s17, s25, s17
	s_andn2_b32 exec_lo, exec_lo, s17
	s_cbranch_execz .LBB61_8
.LBB61_12:                              ;   Parent Loop BB61_6 Depth=1
                                        ;     Parent Loop BB61_9 Depth=2
                                        ; =>    This Inner Loop Header: Depth=3
	v_lshl_add_u32 v17, v16, 3, 0
	s_andn2_b32 s24, s24, exec_lo
	s_mov_b32 s25, exec_lo
	ds_read_b64 v[9:10], v17
	s_waitcnt lgkmcnt(0)
	v_cmpx_ne_u64_e64 v[9:10], v[7:8]
	s_cbranch_execz .LBB61_11
; %bb.13:                               ;   in Loop: Header=BB61_12 Depth=3
	s_mov_b32 s26, exec_lo
	v_cmpx_ne_u64_e64 s[20:21], v[9:10]
	s_xor_b32 s26, exec_lo, s26
; %bb.14:                               ;   in Loop: Header=BB61_12 Depth=3
	v_add_nc_u32_e32 v9, 1, v16
                                        ; implicit-def: $vgpr17
	v_and_b32_e32 v16, 0xfff, v9
; %bb.15:                               ;   in Loop: Header=BB61_12 Depth=3
	s_or_saveexec_b32 s26, s26
	s_mov_b32 s27, -1
	s_xor_b32 exec_lo, exec_lo, s26
	s_cbranch_execz .LBB61_10
; %bb.16:                               ;   in Loop: Header=BB61_12 Depth=3
	v_mov_b32_e32 v9, s20
	v_mov_b32_e32 v10, s21
	ds_cmpst_rtn_b64 v[9:10], v17, v[9:10], v[7:8]
	s_waitcnt lgkmcnt(0)
	v_cmp_ne_u64_e32 vcc_lo, s[20:21], v[9:10]
	s_orn2_b32 s27, vcc_lo, exec_lo
	s_branch .LBB61_10
.LBB61_17:
	s_or_b32 exec_lo, exec_lo, s3
.LBB61_18:
	s_bfe_u32 s0, s2, 0x10008
	s_cmp_eq_u32 s0, 0
	s_cbranch_scc1 .LBB61_31
; %bb.19:
	s_waitcnt lgkmcnt(0)
	s_lshl_b64 s[0:1], s[22:23], 3
	v_sub_co_u32 v1, s4, v0, s19
	s_add_u32 s0, s14, s0
	s_addc_u32 s1, s15, s1
	v_sub_co_ci_u32_e64 v2, null, 0, 0, s4
	s_load_dwordx4 s[0:3], s[0:1], 0x0
	s_waitcnt lgkmcnt(0)
	v_add_co_u32 v1, vcc_lo, s0, v1
	v_add_co_ci_u32_e64 v2, null, s1, v2, vcc_lo
	s_sub_u32 s0, s2, s19
	s_subb_u32 s1, s3, 0
	s_mov_b32 s2, 0
	s_mov_b32 s3, exec_lo
	v_cmpx_gt_i64_e64 s[0:1], v[1:2]
	s_cbranch_execz .LBB61_30
; %bb.20:
	s_mov_b32 s4, s19
	s_branch .LBB61_22
.LBB61_21:                              ;   in Loop: Header=BB61_22 Depth=1
	s_inst_prefetch 0x2
	s_or_b32 exec_lo, exec_lo, s5
	v_add_co_u32 v1, vcc_lo, 0x400, v1
	v_add_co_ci_u32_e64 v2, null, 0, v2, vcc_lo
	v_cmp_le_i64_e32 vcc_lo, s[0:1], v[1:2]
	s_or_b32 s2, vcc_lo, s2
	s_andn2_b32 exec_lo, exec_lo, s2
	s_cbranch_execz .LBB61_30
.LBB61_22:                              ; =>This Loop Header: Depth=1
                                        ;     Child Loop BB61_25 Depth 2
	v_lshlrev_b64 v[3:4], 3, v[1:2]
	s_mov_b32 s5, 0
                                        ; implicit-def: $sgpr6
	v_add_co_u32 v3, vcc_lo, s28, v3
	v_add_co_ci_u32_e64 v4, null, s29, v4, vcc_lo
	global_load_dwordx2 v[3:4], v[3:4], off
	s_waitcnt vmcnt(0)
	v_sub_co_u32 v3, vcc_lo, v3, s4
	v_subrev_co_ci_u32_e64 v4, null, 0, v4, vcc_lo
	v_mul_lo_u32 v5, 0x89, v3
	v_and_b32_e32 v7, 0xfff, v5
	s_inst_prefetch 0x1
	s_branch .LBB61_25
	.p2align	6
.LBB61_23:                              ;   in Loop: Header=BB61_25 Depth=2
	s_or_b32 exec_lo, exec_lo, s8
	s_andn2_b32 s6, s6, exec_lo
	s_and_b32 s8, s9, exec_lo
	s_or_b32 s6, s6, s8
.LBB61_24:                              ;   in Loop: Header=BB61_25 Depth=2
	s_or_b32 exec_lo, exec_lo, s7
	s_xor_b32 s7, s6, -1
	s_and_b32 s7, exec_lo, s7
	s_or_b32 s5, s7, s5
	s_andn2_b32 exec_lo, exec_lo, s5
	s_cbranch_execz .LBB61_21
.LBB61_25:                              ;   Parent Loop BB61_22 Depth=1
                                        ; =>  This Inner Loop Header: Depth=2
	v_lshl_add_u32 v8, v7, 3, 0
	s_andn2_b32 s6, s6, exec_lo
	s_mov_b32 s7, exec_lo
	ds_read_b64 v[5:6], v8
	s_waitcnt lgkmcnt(0)
	v_cmpx_ne_u64_e64 v[5:6], v[3:4]
	s_cbranch_execz .LBB61_24
; %bb.26:                               ;   in Loop: Header=BB61_25 Depth=2
	s_mov_b32 s8, exec_lo
	v_cmpx_ne_u64_e64 s[20:21], v[5:6]
	s_xor_b32 s8, exec_lo, s8
; %bb.27:                               ;   in Loop: Header=BB61_25 Depth=2
	v_add_nc_u32_e32 v5, 1, v7
                                        ; implicit-def: $vgpr8
	v_and_b32_e32 v7, 0xfff, v5
; %bb.28:                               ;   in Loop: Header=BB61_25 Depth=2
	s_or_saveexec_b32 s8, s8
	s_mov_b32 s9, -1
	s_xor_b32 exec_lo, exec_lo, s8
	s_cbranch_execz .LBB61_23
; %bb.29:                               ;   in Loop: Header=BB61_25 Depth=2
	v_mov_b32_e32 v5, s20
	v_mov_b32_e32 v6, s21
	ds_cmpst_rtn_b64 v[5:6], v8, v[5:6], v[3:4]
	s_waitcnt lgkmcnt(0)
	v_cmp_ne_u64_e32 vcc_lo, s[20:21], v[5:6]
	s_orn2_b32 s9, vcc_lo, exec_lo
	s_branch .LBB61_23
.LBB61_30:
	s_or_b32 exec_lo, exec_lo, s3
.LBB61_31:
	v_mbcnt_lo_u32_b32 v1, -1, 0
	v_mov_b32_e32 v3, 0
	v_mov_b32_e32 v2, 0
	v_lshl_add_u32 v9, v13, 3, 0
	v_cmp_lt_u32_e64 s0, 63, v0
	v_xor_b32_e32 v1, 31, v1
	v_cmp_lt_u32_e64 s1, 0x7f, v0
	v_cmp_lt_u32_e64 s2, 0xbf, v0
	;; [unrolled: 1-line block ×4, first 2 shown]
	v_lshrrev_b32_e64 v10, v1, -1
	v_cmp_lt_u32_e64 s5, 0x17f, v0
	v_cmp_lt_u32_e64 s6, 0x1bf, v0
	;; [unrolled: 1-line block ×9, first 2 shown]
	v_mov_b32_e32 v4, 0
	v_cmp_lt_u32_e64 s14, 0x3bf, v0
	s_waitcnt lgkmcnt(0)
	s_mov_b32 s17, 0
	v_cmp_eq_u32_e32 vcc_lo, 0x3ff, v0
	s_barrier
	buffer_gl0_inv
	s_branch .LBB61_33
.LBB61_32:                              ;   in Loop: Header=BB61_33 Depth=1
	s_or_b32 exec_lo, exec_lo, s15
	s_waitcnt lgkmcnt(0)
	s_barrier
	buffer_gl0_inv
	ds_read_b64 v[5:6], v2 offset:32888
	v_add_nc_u32_e32 v12, 0x400, v12
	v_add_nc_u32_e32 v11, 0x2000, v11
	v_cmp_lt_u32_e64 s15, 0xbff, v12
	s_or_b32 s17, s15, s17
	s_waitcnt lgkmcnt(0)
	v_add_co_u32 v3, s16, v5, v3
	v_add_co_ci_u32_e64 v4, null, v6, v4, s16
	s_andn2_b32 exec_lo, exec_lo, s17
	s_cbranch_execz .LBB61_67
.LBB61_33:                              ; =>This Inner Loop Header: Depth=1
	ds_read_b64 v[5:6], v11
	s_waitcnt lgkmcnt(0)
	s_barrier
	buffer_gl0_inv
	v_cmp_gt_i64_e64 s15, s[20:21], v[5:6]
	v_and_b32_e32 v7, s15, v10
	s_bcnt1_i32_b32 s16, s15
	v_mov_b32_e32 v1, s16
	v_bcnt_u32_b32 v7, v7, 0
	ds_write_b64 v9, v[1:2] offset:32768
	s_waitcnt lgkmcnt(0)
	s_barrier
	buffer_gl0_inv
	s_and_saveexec_b32 s16, s0
	s_cbranch_execnz .LBB61_50
; %bb.34:                               ;   in Loop: Header=BB61_33 Depth=1
	s_or_b32 exec_lo, exec_lo, s16
	s_and_saveexec_b32 s16, s1
	s_cbranch_execnz .LBB61_51
.LBB61_35:                              ;   in Loop: Header=BB61_33 Depth=1
	s_or_b32 exec_lo, exec_lo, s16
	s_and_saveexec_b32 s16, s2
	s_cbranch_execnz .LBB61_52
.LBB61_36:                              ;   in Loop: Header=BB61_33 Depth=1
	s_or_b32 exec_lo, exec_lo, s16
	s_and_saveexec_b32 s16, s3
	s_cbranch_execnz .LBB61_53
.LBB61_37:                              ;   in Loop: Header=BB61_33 Depth=1
	s_or_b32 exec_lo, exec_lo, s16
	s_and_saveexec_b32 s16, s4
	s_cbranch_execnz .LBB61_54
.LBB61_38:                              ;   in Loop: Header=BB61_33 Depth=1
	s_or_b32 exec_lo, exec_lo, s16
	s_and_saveexec_b32 s16, s5
	s_cbranch_execnz .LBB61_55
.LBB61_39:                              ;   in Loop: Header=BB61_33 Depth=1
	s_or_b32 exec_lo, exec_lo, s16
	s_and_saveexec_b32 s16, s6
	s_cbranch_execnz .LBB61_56
.LBB61_40:                              ;   in Loop: Header=BB61_33 Depth=1
	s_or_b32 exec_lo, exec_lo, s16
	s_and_saveexec_b32 s16, s7
	s_cbranch_execnz .LBB61_57
.LBB61_41:                              ;   in Loop: Header=BB61_33 Depth=1
	s_or_b32 exec_lo, exec_lo, s16
	s_and_saveexec_b32 s16, s8
	s_cbranch_execnz .LBB61_58
.LBB61_42:                              ;   in Loop: Header=BB61_33 Depth=1
	s_or_b32 exec_lo, exec_lo, s16
	s_and_saveexec_b32 s16, s9
	s_cbranch_execnz .LBB61_59
.LBB61_43:                              ;   in Loop: Header=BB61_33 Depth=1
	s_or_b32 exec_lo, exec_lo, s16
	s_and_saveexec_b32 s16, s10
	s_cbranch_execnz .LBB61_60
.LBB61_44:                              ;   in Loop: Header=BB61_33 Depth=1
	s_or_b32 exec_lo, exec_lo, s16
	s_and_saveexec_b32 s16, s11
	s_cbranch_execnz .LBB61_61
.LBB61_45:                              ;   in Loop: Header=BB61_33 Depth=1
	s_or_b32 exec_lo, exec_lo, s16
	s_and_saveexec_b32 s16, s12
	s_cbranch_execnz .LBB61_62
.LBB61_46:                              ;   in Loop: Header=BB61_33 Depth=1
	s_or_b32 exec_lo, exec_lo, s16
	s_and_saveexec_b32 s16, s13
	s_cbranch_execnz .LBB61_63
.LBB61_47:                              ;   in Loop: Header=BB61_33 Depth=1
	s_or_b32 exec_lo, exec_lo, s16
	s_and_saveexec_b32 s16, s14
	s_cbranch_execnz .LBB61_64
.LBB61_48:                              ;   in Loop: Header=BB61_33 Depth=1
	s_or_b32 exec_lo, exec_lo, s16
	v_ashrrev_i32_e32 v8, 31, v7
	s_and_saveexec_b32 s16, s15
	s_cbranch_execnz .LBB61_65
.LBB61_49:                              ;   in Loop: Header=BB61_33 Depth=1
	s_or_b32 exec_lo, exec_lo, s16
	s_and_saveexec_b32 s15, vcc_lo
	s_cbranch_execz .LBB61_32
	s_branch .LBB61_66
.LBB61_50:                              ;   in Loop: Header=BB61_33 Depth=1
	ds_read_b32 v1, v2 offset:32768
	s_waitcnt lgkmcnt(0)
	v_add_nc_u32_e32 v7, v1, v7
	s_or_b32 exec_lo, exec_lo, s16
	s_and_saveexec_b32 s16, s1
	s_cbranch_execz .LBB61_35
.LBB61_51:                              ;   in Loop: Header=BB61_33 Depth=1
	ds_read_b32 v1, v2 offset:32776
	s_waitcnt lgkmcnt(0)
	v_add_nc_u32_e32 v7, v7, v1
	s_or_b32 exec_lo, exec_lo, s16
	s_and_saveexec_b32 s16, s2
	s_cbranch_execz .LBB61_36
.LBB61_52:                              ;   in Loop: Header=BB61_33 Depth=1
	ds_read_b32 v1, v2 offset:32784
	s_waitcnt lgkmcnt(0)
	v_add_nc_u32_e32 v7, v7, v1
	s_or_b32 exec_lo, exec_lo, s16
	s_and_saveexec_b32 s16, s3
	s_cbranch_execz .LBB61_37
.LBB61_53:                              ;   in Loop: Header=BB61_33 Depth=1
	ds_read_b32 v1, v2 offset:32792
	s_waitcnt lgkmcnt(0)
	v_add_nc_u32_e32 v7, v7, v1
	s_or_b32 exec_lo, exec_lo, s16
	s_and_saveexec_b32 s16, s4
	s_cbranch_execz .LBB61_38
.LBB61_54:                              ;   in Loop: Header=BB61_33 Depth=1
	ds_read_b32 v1, v2 offset:32800
	s_waitcnt lgkmcnt(0)
	v_add_nc_u32_e32 v7, v7, v1
	s_or_b32 exec_lo, exec_lo, s16
	s_and_saveexec_b32 s16, s5
	s_cbranch_execz .LBB61_39
.LBB61_55:                              ;   in Loop: Header=BB61_33 Depth=1
	ds_read_b32 v1, v2 offset:32808
	s_waitcnt lgkmcnt(0)
	v_add_nc_u32_e32 v7, v7, v1
	s_or_b32 exec_lo, exec_lo, s16
	s_and_saveexec_b32 s16, s6
	s_cbranch_execz .LBB61_40
.LBB61_56:                              ;   in Loop: Header=BB61_33 Depth=1
	ds_read_b32 v1, v2 offset:32816
	s_waitcnt lgkmcnt(0)
	v_add_nc_u32_e32 v7, v7, v1
	s_or_b32 exec_lo, exec_lo, s16
	s_and_saveexec_b32 s16, s7
	s_cbranch_execz .LBB61_41
.LBB61_57:                              ;   in Loop: Header=BB61_33 Depth=1
	ds_read_b32 v1, v2 offset:32824
	s_waitcnt lgkmcnt(0)
	v_add_nc_u32_e32 v7, v7, v1
	s_or_b32 exec_lo, exec_lo, s16
	s_and_saveexec_b32 s16, s8
	s_cbranch_execz .LBB61_42
.LBB61_58:                              ;   in Loop: Header=BB61_33 Depth=1
	ds_read_b32 v1, v2 offset:32832
	s_waitcnt lgkmcnt(0)
	v_add_nc_u32_e32 v7, v7, v1
	s_or_b32 exec_lo, exec_lo, s16
	s_and_saveexec_b32 s16, s9
	s_cbranch_execz .LBB61_43
.LBB61_59:                              ;   in Loop: Header=BB61_33 Depth=1
	ds_read_b32 v1, v2 offset:32840
	s_waitcnt lgkmcnt(0)
	v_add_nc_u32_e32 v7, v7, v1
	s_or_b32 exec_lo, exec_lo, s16
	s_and_saveexec_b32 s16, s10
	s_cbranch_execz .LBB61_44
.LBB61_60:                              ;   in Loop: Header=BB61_33 Depth=1
	ds_read_b32 v1, v2 offset:32848
	s_waitcnt lgkmcnt(0)
	v_add_nc_u32_e32 v7, v7, v1
	s_or_b32 exec_lo, exec_lo, s16
	s_and_saveexec_b32 s16, s11
	s_cbranch_execz .LBB61_45
.LBB61_61:                              ;   in Loop: Header=BB61_33 Depth=1
	ds_read_b32 v1, v2 offset:32856
	s_waitcnt lgkmcnt(0)
	v_add_nc_u32_e32 v7, v7, v1
	s_or_b32 exec_lo, exec_lo, s16
	s_and_saveexec_b32 s16, s12
	s_cbranch_execz .LBB61_46
.LBB61_62:                              ;   in Loop: Header=BB61_33 Depth=1
	ds_read_b32 v1, v2 offset:32864
	s_waitcnt lgkmcnt(0)
	v_add_nc_u32_e32 v7, v7, v1
	s_or_b32 exec_lo, exec_lo, s16
	s_and_saveexec_b32 s16, s13
	s_cbranch_execz .LBB61_47
.LBB61_63:                              ;   in Loop: Header=BB61_33 Depth=1
	ds_read_b32 v1, v2 offset:32872
	s_waitcnt lgkmcnt(0)
	v_add_nc_u32_e32 v7, v7, v1
	s_or_b32 exec_lo, exec_lo, s16
	s_and_saveexec_b32 s16, s14
	s_cbranch_execz .LBB61_48
.LBB61_64:                              ;   in Loop: Header=BB61_33 Depth=1
	ds_read_b32 v1, v2 offset:32880
	s_waitcnt lgkmcnt(0)
	v_add_nc_u32_e32 v7, v7, v1
	s_or_b32 exec_lo, exec_lo, s16
	v_ashrrev_i32_e32 v8, 31, v7
	s_and_saveexec_b32 s16, s15
	s_cbranch_execz .LBB61_49
.LBB61_65:                              ;   in Loop: Header=BB61_33 Depth=1
	v_lshlrev_b32_e32 v1, 3, v3
	v_lshlrev_b32_e32 v13, 3, v7
	v_add_nc_u32_e32 v1, 0, v1
	v_add3_u32 v1, v1, v13, -8
	ds_write_b64 v1, v[5:6]
	s_or_b32 exec_lo, exec_lo, s16
	s_and_saveexec_b32 s15, vcc_lo
	s_cbranch_execz .LBB61_32
.LBB61_66:                              ;   in Loop: Header=BB61_33 Depth=1
	ds_write_b64 v2, v[7:8] offset:32888
	s_branch .LBB61_32
.LBB61_67:
	s_or_b32 exec_lo, exec_lo, s17
	s_lshl_b64 s[0:1], s[22:23], 3
	v_mov_b32_e32 v1, 0
	s_add_u32 s0, s30, s0
	s_addc_u32 s1, s31, s1
	s_mov_b32 s6, exec_lo
	s_load_dwordx4 s[0:3], s[0:1], 0x0
	s_waitcnt lgkmcnt(0)
	s_sub_u32 s4, s2, s0
	s_subb_u32 s5, s3, s1
	v_cmpx_gt_i64_e64 s[4:5], v[0:1]
	s_cbranch_execz .LBB61_77
; %bb.68:
	s_sub_u32 s8, s0, s18
	s_subb_u32 s9, s1, 0
	s_and_b32 s6, s4, 7
	s_sub_u32 s0, s0, s2
	s_subb_u32 s1, s1, s3
	s_mov_b32 s7, 0
	v_cmp_lt_u64_e64 s12, s[0:1], -7
	s_and_b32 s2, s4, -8
	s_cmp_lg_u64 s[6:7], 0
	s_mov_b32 s3, s5
	s_cselect_b32 s13, -1, 0
	s_mov_b32 s14, s7
	s_branch .LBB61_70
.LBB61_69:                              ;   in Loop: Header=BB61_70 Depth=1
	v_add_co_u32 v0, vcc_lo, 0x400, v0
	v_lshlrev_b64 v[4:5], 3, v[4:5]
	v_add_co_ci_u32_e64 v1, null, 0, v1, vcc_lo
	s_waitcnt lgkmcnt(0)
	v_add_co_u32 v2, vcc_lo, v2, s18
	v_add_co_ci_u32_e64 v3, null, 0, v3, vcc_lo
	v_cmp_le_i64_e32 vcc_lo, s[4:5], v[0:1]
	v_add_co_u32 v4, s0, s34, v4
	v_add_co_ci_u32_e64 v5, null, s35, v5, s0
	s_or_b32 s14, vcc_lo, s14
	global_store_dwordx2 v[4:5], v[2:3], off
	s_andn2_b32 exec_lo, exec_lo, s14
	s_cbranch_execz .LBB61_77
.LBB61_70:                              ; =>This Loop Header: Depth=1
                                        ;     Child Loop BB61_72 Depth 2
                                        ;     Child Loop BB61_76 Depth 2
	v_lshl_add_u32 v2, v0, 3, 0
	v_mov_b32_e32 v4, s8
	v_mov_b32_e32 v5, s9
	s_andn2_b32 vcc_lo, exec_lo, s12
	s_mov_b64 s[0:1], 0
	ds_read_b64 v[2:3], v2
	s_cbranch_vccnz .LBB61_74
; %bb.71:                               ;   in Loop: Header=BB61_70 Depth=1
	v_mov_b32_e32 v4, s8
	v_mov_b32_e32 v5, s9
	s_mov_b64 s[10:11], 0
	s_mov_b32 s1, 0
.LBB61_72:                              ;   Parent Loop BB61_70 Depth=1
                                        ; =>  This Inner Loop Header: Depth=2
	v_mov_b32_e32 v18, s1
	s_add_u32 s10, s10, 8
	s_addc_u32 s11, s11, 0
	s_add_i32 s1, s1, 64
	s_cmp_eq_u64 s[2:3], s[10:11]
	ds_read2_b64 v[6:9], v18 offset1:1
	ds_read2_b64 v[10:13], v18 offset0:2 offset1:3
	ds_read2_b64 v[14:17], v18 offset0:4 offset1:5
	;; [unrolled: 1-line block ×3, first 2 shown]
	s_waitcnt lgkmcnt(3)
	v_cmp_gt_i64_e32 vcc_lo, v[2:3], v[6:7]
	v_cndmask_b32_e64 v6, 0, 1, vcc_lo
	v_cmp_gt_i64_e32 vcc_lo, v[2:3], v[8:9]
	v_cndmask_b32_e64 v7, 0, 1, vcc_lo
	s_waitcnt lgkmcnt(2)
	v_cmp_gt_i64_e32 vcc_lo, v[2:3], v[10:11]
	v_cndmask_b32_e64 v8, 0, 1, vcc_lo
	v_cmp_gt_i64_e32 vcc_lo, v[2:3], v[12:13]
	v_cndmask_b32_e64 v9, 0, 1, vcc_lo
	s_waitcnt lgkmcnt(1)
	v_cmp_gt_i64_e32 vcc_lo, v[2:3], v[14:15]
	v_cndmask_b32_e64 v10, 0, 1, vcc_lo
	v_add_co_u32 v4, vcc_lo, v4, v6
	v_add_co_ci_u32_e64 v5, null, 0, v5, vcc_lo
	v_cmp_gt_i64_e32 vcc_lo, v[2:3], v[16:17]
	v_add_co_u32 v4, s0, v4, v7
	v_add_co_ci_u32_e64 v5, null, 0, v5, s0
	v_cndmask_b32_e64 v6, 0, 1, vcc_lo
	v_add_co_u32 v4, vcc_lo, v4, v8
	v_add_co_ci_u32_e64 v5, null, 0, v5, vcc_lo
	s_waitcnt lgkmcnt(0)
	v_cmp_gt_i64_e32 vcc_lo, v[2:3], v[18:19]
	v_add_co_u32 v4, s0, v4, v9
	v_add_co_ci_u32_e64 v5, null, 0, v5, s0
	v_cndmask_b32_e64 v7, 0, 1, vcc_lo
	v_add_co_u32 v4, vcc_lo, v4, v10
	v_add_co_ci_u32_e64 v5, null, 0, v5, vcc_lo
	v_cmp_gt_i64_e32 vcc_lo, v[2:3], v[20:21]
	v_add_co_u32 v4, s0, v4, v6
	v_add_co_ci_u32_e64 v5, null, 0, v5, s0
	v_cndmask_b32_e64 v6, 0, 1, vcc_lo
	v_add_co_u32 v4, vcc_lo, v4, v7
	v_add_co_ci_u32_e64 v5, null, 0, v5, vcc_lo
	v_add_co_u32 v4, vcc_lo, v4, v6
	v_add_co_ci_u32_e64 v5, null, 0, v5, vcc_lo
	s_cbranch_scc0 .LBB61_72
; %bb.73:                               ;   in Loop: Header=BB61_70 Depth=1
	s_mov_b64 s[0:1], s[2:3]
.LBB61_74:                              ;   in Loop: Header=BB61_70 Depth=1
	s_andn2_b32 vcc_lo, exec_lo, s13
	s_cbranch_vccnz .LBB61_69
; %bb.75:                               ;   in Loop: Header=BB61_70 Depth=1
	s_lshl_b32 s0, s0, 3
	s_add_i32 s10, s0, 0
	s_mov_b64 s[0:1], s[6:7]
.LBB61_76:                              ;   Parent Loop BB61_70 Depth=1
                                        ; =>  This Inner Loop Header: Depth=2
	v_mov_b32_e32 v6, s10
	s_add_i32 s10, s10, 8
	s_add_u32 s0, s0, -1
	s_addc_u32 s1, s1, -1
	s_cmp_lg_u64 s[0:1], 0
	ds_read_b64 v[6:7], v6
	s_waitcnt lgkmcnt(0)
	v_cmp_gt_i64_e32 vcc_lo, v[2:3], v[6:7]
	v_cndmask_b32_e64 v6, 0, 1, vcc_lo
	v_add_co_u32 v4, vcc_lo, v4, v6
	v_add_co_ci_u32_e64 v5, null, 0, v5, vcc_lo
	s_cbranch_scc1 .LBB61_76
	s_branch .LBB61_69
.LBB61_77:
	s_endpgm
	.section	.rodata,"a",@progbits
	.p2align	6, 0x0
	.amdhsa_kernel _ZN9rocsparseL35csrgemm_symbolic_fill_block_per_rowILj1024ELj64ELj4096ELj137ELj64EllEEvT5_PKS1_S3_PKT4_S3_S6_S3_S6_S3_S6_PS1_21rocsparse_index_base_S8_S8_S8_bb
		.amdhsa_group_segment_fixed_size 0
		.amdhsa_private_segment_fixed_size 0
		.amdhsa_kernarg_size 108
		.amdhsa_user_sgpr_count 6
		.amdhsa_user_sgpr_private_segment_buffer 1
		.amdhsa_user_sgpr_dispatch_ptr 0
		.amdhsa_user_sgpr_queue_ptr 0
		.amdhsa_user_sgpr_kernarg_segment_ptr 1
		.amdhsa_user_sgpr_dispatch_id 0
		.amdhsa_user_sgpr_flat_scratch_init 0
		.amdhsa_user_sgpr_private_segment_size 0
		.amdhsa_wavefront_size32 1
		.amdhsa_uses_dynamic_stack 0
		.amdhsa_system_sgpr_private_segment_wavefront_offset 0
		.amdhsa_system_sgpr_workgroup_id_x 1
		.amdhsa_system_sgpr_workgroup_id_y 0
		.amdhsa_system_sgpr_workgroup_id_z 0
		.amdhsa_system_sgpr_workgroup_info 0
		.amdhsa_system_vgpr_workitem_id 0
		.amdhsa_next_free_vgpr 22
		.amdhsa_next_free_sgpr 36
		.amdhsa_reserve_vcc 1
		.amdhsa_reserve_flat_scratch 0
		.amdhsa_float_round_mode_32 0
		.amdhsa_float_round_mode_16_64 0
		.amdhsa_float_denorm_mode_32 3
		.amdhsa_float_denorm_mode_16_64 3
		.amdhsa_dx10_clamp 1
		.amdhsa_ieee_mode 1
		.amdhsa_fp16_overflow 0
		.amdhsa_workgroup_processor_mode 1
		.amdhsa_memory_ordered 1
		.amdhsa_forward_progress 1
		.amdhsa_shared_vgpr_count 0
		.amdhsa_exception_fp_ieee_invalid_op 0
		.amdhsa_exception_fp_denorm_src 0
		.amdhsa_exception_fp_ieee_div_zero 0
		.amdhsa_exception_fp_ieee_overflow 0
		.amdhsa_exception_fp_ieee_underflow 0
		.amdhsa_exception_fp_ieee_inexact 0
		.amdhsa_exception_int_div_zero 0
	.end_amdhsa_kernel
	.section	.text._ZN9rocsparseL35csrgemm_symbolic_fill_block_per_rowILj1024ELj64ELj4096ELj137ELj64EllEEvT5_PKS1_S3_PKT4_S3_S6_S3_S6_S3_S6_PS1_21rocsparse_index_base_S8_S8_S8_bb,"axG",@progbits,_ZN9rocsparseL35csrgemm_symbolic_fill_block_per_rowILj1024ELj64ELj4096ELj137ELj64EllEEvT5_PKS1_S3_PKT4_S3_S6_S3_S6_S3_S6_PS1_21rocsparse_index_base_S8_S8_S8_bb,comdat
.Lfunc_end61:
	.size	_ZN9rocsparseL35csrgemm_symbolic_fill_block_per_rowILj1024ELj64ELj4096ELj137ELj64EllEEvT5_PKS1_S3_PKT4_S3_S6_S3_S6_S3_S6_PS1_21rocsparse_index_base_S8_S8_S8_bb, .Lfunc_end61-_ZN9rocsparseL35csrgemm_symbolic_fill_block_per_rowILj1024ELj64ELj4096ELj137ELj64EllEEvT5_PKS1_S3_PKT4_S3_S6_S3_S6_S3_S6_PS1_21rocsparse_index_base_S8_S8_S8_bb
                                        ; -- End function
	.set _ZN9rocsparseL35csrgemm_symbolic_fill_block_per_rowILj1024ELj64ELj4096ELj137ELj64EllEEvT5_PKS1_S3_PKT4_S3_S6_S3_S6_S3_S6_PS1_21rocsparse_index_base_S8_S8_S8_bb.num_vgpr, 22
	.set _ZN9rocsparseL35csrgemm_symbolic_fill_block_per_rowILj1024ELj64ELj4096ELj137ELj64EllEEvT5_PKS1_S3_PKT4_S3_S6_S3_S6_S3_S6_PS1_21rocsparse_index_base_S8_S8_S8_bb.num_agpr, 0
	.set _ZN9rocsparseL35csrgemm_symbolic_fill_block_per_rowILj1024ELj64ELj4096ELj137ELj64EllEEvT5_PKS1_S3_PKT4_S3_S6_S3_S6_S3_S6_PS1_21rocsparse_index_base_S8_S8_S8_bb.numbered_sgpr, 36
	.set _ZN9rocsparseL35csrgemm_symbolic_fill_block_per_rowILj1024ELj64ELj4096ELj137ELj64EllEEvT5_PKS1_S3_PKT4_S3_S6_S3_S6_S3_S6_PS1_21rocsparse_index_base_S8_S8_S8_bb.num_named_barrier, 0
	.set _ZN9rocsparseL35csrgemm_symbolic_fill_block_per_rowILj1024ELj64ELj4096ELj137ELj64EllEEvT5_PKS1_S3_PKT4_S3_S6_S3_S6_S3_S6_PS1_21rocsparse_index_base_S8_S8_S8_bb.private_seg_size, 0
	.set _ZN9rocsparseL35csrgemm_symbolic_fill_block_per_rowILj1024ELj64ELj4096ELj137ELj64EllEEvT5_PKS1_S3_PKT4_S3_S6_S3_S6_S3_S6_PS1_21rocsparse_index_base_S8_S8_S8_bb.uses_vcc, 1
	.set _ZN9rocsparseL35csrgemm_symbolic_fill_block_per_rowILj1024ELj64ELj4096ELj137ELj64EllEEvT5_PKS1_S3_PKT4_S3_S6_S3_S6_S3_S6_PS1_21rocsparse_index_base_S8_S8_S8_bb.uses_flat_scratch, 0
	.set _ZN9rocsparseL35csrgemm_symbolic_fill_block_per_rowILj1024ELj64ELj4096ELj137ELj64EllEEvT5_PKS1_S3_PKT4_S3_S6_S3_S6_S3_S6_PS1_21rocsparse_index_base_S8_S8_S8_bb.has_dyn_sized_stack, 0
	.set _ZN9rocsparseL35csrgemm_symbolic_fill_block_per_rowILj1024ELj64ELj4096ELj137ELj64EllEEvT5_PKS1_S3_PKT4_S3_S6_S3_S6_S3_S6_PS1_21rocsparse_index_base_S8_S8_S8_bb.has_recursion, 0
	.set _ZN9rocsparseL35csrgemm_symbolic_fill_block_per_rowILj1024ELj64ELj4096ELj137ELj64EllEEvT5_PKS1_S3_PKT4_S3_S6_S3_S6_S3_S6_PS1_21rocsparse_index_base_S8_S8_S8_bb.has_indirect_call, 0
	.section	.AMDGPU.csdata,"",@progbits
; Kernel info:
; codeLenInByte = 3052
; TotalNumSgprs: 38
; NumVgprs: 22
; ScratchSize: 0
; MemoryBound: 0
; FloatMode: 240
; IeeeMode: 1
; LDSByteSize: 0 bytes/workgroup (compile time only)
; SGPRBlocks: 0
; VGPRBlocks: 2
; NumSGPRsForWavesPerEU: 38
; NumVGPRsForWavesPerEU: 22
; Occupancy: 16
; WaveLimiterHint : 1
; COMPUTE_PGM_RSRC2:SCRATCH_EN: 0
; COMPUTE_PGM_RSRC2:USER_SGPR: 6
; COMPUTE_PGM_RSRC2:TRAP_HANDLER: 0
; COMPUTE_PGM_RSRC2:TGID_X_EN: 1
; COMPUTE_PGM_RSRC2:TGID_Y_EN: 0
; COMPUTE_PGM_RSRC2:TGID_Z_EN: 0
; COMPUTE_PGM_RSRC2:TIDIG_COMP_CNT: 0
	.section	.text._ZN9rocsparseL35csrgemm_symbolic_fill_block_per_rowILj1024ELj64ELj8192ELj137ELj32EllEEvT5_PKS1_S3_PKT4_S3_S6_S3_S6_S3_S6_PS1_21rocsparse_index_base_S8_S8_S8_bb,"axG",@progbits,_ZN9rocsparseL35csrgemm_symbolic_fill_block_per_rowILj1024ELj64ELj8192ELj137ELj32EllEEvT5_PKS1_S3_PKT4_S3_S6_S3_S6_S3_S6_PS1_21rocsparse_index_base_S8_S8_S8_bb,comdat
	.globl	_ZN9rocsparseL35csrgemm_symbolic_fill_block_per_rowILj1024ELj64ELj8192ELj137ELj32EllEEvT5_PKS1_S3_PKT4_S3_S6_S3_S6_S3_S6_PS1_21rocsparse_index_base_S8_S8_S8_bb ; -- Begin function _ZN9rocsparseL35csrgemm_symbolic_fill_block_per_rowILj1024ELj64ELj8192ELj137ELj32EllEEvT5_PKS1_S3_PKT4_S3_S6_S3_S6_S3_S6_PS1_21rocsparse_index_base_S8_S8_S8_bb
	.p2align	8
	.type	_ZN9rocsparseL35csrgemm_symbolic_fill_block_per_rowILj1024ELj64ELj8192ELj137ELj32EllEEvT5_PKS1_S3_PKT4_S3_S6_S3_S6_S3_S6_PS1_21rocsparse_index_base_S8_S8_S8_bb,@function
_ZN9rocsparseL35csrgemm_symbolic_fill_block_per_rowILj1024ELj64ELj8192ELj137ELj32EllEEvT5_PKS1_S3_PKT4_S3_S6_S3_S6_S3_S6_PS1_21rocsparse_index_base_S8_S8_S8_bb: ; @_ZN9rocsparseL35csrgemm_symbolic_fill_block_per_rowILj1024ELj64ELj8192ELj137ELj32EllEEvT5_PKS1_S3_PKT4_S3_S6_S3_S6_S3_S6_PS1_21rocsparse_index_base_S8_S8_S8_bb
; %bb.0:
	s_clause 0x1
	s_load_dwordx4 s[44:47], s[4:5], 0x0
	s_load_dwordx2 s[0:1], s[4:5], 0x10
	v_lshl_add_u32 v11, v0, 3, 0
	s_mov_b32 s7, 0
	s_load_dword s10, s[4:5], 0x68
	s_waitcnt lgkmcnt(0)
	v_mov_b32_e32 v1, s44
	v_mov_b32_e32 v3, s44
	;; [unrolled: 1-line block ×16, first 2 shown]
	ds_write2st64_b64 v11, v[1:2], v[3:4] offset1:16
	ds_write2st64_b64 v11, v[5:6], v[7:8] offset0:32 offset1:48
	ds_write2st64_b64 v11, v[9:10], v[12:13] offset0:64 offset1:80
	;; [unrolled: 1-line block ×3, first 2 shown]
	s_waitcnt lgkmcnt(0)
	s_barrier
	buffer_gl0_inv
	s_load_dwordx2 s[2:3], s[46:47], 0x0
	s_waitcnt lgkmcnt(0)
	s_lshl_b64 s[2:3], s[2:3], 3
	s_add_u32 s2, s0, s2
	s_addc_u32 s3, s1, s3
	s_lshl_b64 s[0:1], s[6:7], 3
	s_add_u32 s0, s2, s0
	s_addc_u32 s1, s3, s1
	s_load_dwordx4 s[36:39], s[4:5], 0x58
	s_load_dwordx2 s[34:35], s[0:1], 0x0
	s_bitcmp0_b32 s10, 0
	s_cbranch_scc1 .LBB62_16
; %bb.1:
	s_load_dwordx2 s[0:1], s[4:5], 0x18
	s_waitcnt lgkmcnt(0)
	s_lshl_b64 s[2:3], s[34:35], 3
	v_lshrrev_b32_e32 v1, 6, v0
	s_mov_b32 s11, exec_lo
	v_sub_co_u32 v1, s6, v1, s36
	v_sub_co_ci_u32_e64 v2, null, 0, 0, s6
	s_add_u32 s0, s0, s2
	s_addc_u32 s1, s1, s3
	s_load_dwordx4 s[0:3], s[0:1], 0x0
	s_waitcnt lgkmcnt(0)
	v_add_co_u32 v1, vcc_lo, s0, v1
	v_add_co_ci_u32_e64 v2, null, s1, v2, vcc_lo
	s_sub_u32 s6, s2, s36
	s_subb_u32 s7, s3, 0
	v_cmpx_gt_i64_e64 s[6:7], v[1:2]
	s_cbranch_execz .LBB62_15
; %bb.2:
	s_clause 0x1
	s_load_dwordx4 s[0:3], s[4:5], 0x20
	s_load_dwordx2 s[8:9], s[4:5], 0x30
	v_and_b32_e32 v3, 63, v0
	s_mov_b32 s13, s37
	v_sub_co_u32 v12, s12, v3, s37
	v_sub_co_ci_u32_e64 v13, null, 0, 0, s12
	s_mov_b32 s12, 0
	s_branch .LBB62_4
.LBB62_3:                               ;   in Loop: Header=BB62_4 Depth=1
	s_or_b32 exec_lo, exec_lo, s14
	v_add_co_u32 v1, vcc_lo, v1, 16
	v_add_co_ci_u32_e64 v2, null, 0, v2, vcc_lo
	v_cmp_le_i64_e32 vcc_lo, s[6:7], v[1:2]
	s_or_b32 s12, vcc_lo, s12
	s_andn2_b32 exec_lo, exec_lo, s12
	s_cbranch_execz .LBB62_15
.LBB62_4:                               ; =>This Loop Header: Depth=1
                                        ;     Child Loop BB62_7 Depth 2
                                        ;       Child Loop BB62_10 Depth 3
	v_lshlrev_b64 v[3:4], 3, v[1:2]
	s_mov_b32 s14, exec_lo
	s_waitcnt lgkmcnt(0)
	v_add_co_u32 v3, vcc_lo, s0, v3
	v_add_co_ci_u32_e64 v4, null, s1, v4, vcc_lo
	global_load_dwordx2 v[3:4], v[3:4], off
	s_waitcnt vmcnt(0)
	v_sub_co_u32 v3, vcc_lo, v3, s36
	v_subrev_co_ci_u32_e64 v4, null, 0, v4, vcc_lo
	v_lshlrev_b64 v[3:4], 3, v[3:4]
	v_add_co_u32 v3, vcc_lo, s2, v3
	v_add_co_ci_u32_e64 v4, null, s3, v4, vcc_lo
	global_load_dwordx4 v[5:8], v[3:4], off
	s_waitcnt vmcnt(0)
	v_sub_co_u32 v3, vcc_lo, v7, s13
	v_subrev_co_ci_u32_e64 v4, null, 0, v8, vcc_lo
	v_add_co_u32 v5, vcc_lo, v5, v12
	v_add_co_ci_u32_e64 v6, null, v6, v13, vcc_lo
	v_cmpx_lt_i64_e64 v[5:6], v[3:4]
	s_cbranch_execz .LBB62_3
; %bb.5:                                ;   in Loop: Header=BB62_4 Depth=1
	s_mov_b32 s15, 0
	s_branch .LBB62_7
.LBB62_6:                               ;   in Loop: Header=BB62_7 Depth=2
	s_inst_prefetch 0x2
	s_or_b32 exec_lo, exec_lo, s16
	v_add_co_u32 v5, vcc_lo, v5, 64
	v_add_co_ci_u32_e64 v6, null, 0, v6, vcc_lo
	v_cmp_ge_i64_e32 vcc_lo, v[5:6], v[3:4]
	s_or_b32 s15, vcc_lo, s15
	s_andn2_b32 exec_lo, exec_lo, s15
	s_cbranch_execz .LBB62_3
.LBB62_7:                               ;   Parent Loop BB62_4 Depth=1
                                        ; =>  This Loop Header: Depth=2
                                        ;       Child Loop BB62_10 Depth 3
	v_lshlrev_b64 v[7:8], 3, v[5:6]
	s_mov_b32 s16, 0
                                        ; implicit-def: $sgpr17
	v_add_co_u32 v7, vcc_lo, s8, v7
	v_add_co_ci_u32_e64 v8, null, s9, v8, vcc_lo
	global_load_dwordx2 v[7:8], v[7:8], off
	s_waitcnt vmcnt(0)
	v_sub_co_u32 v7, vcc_lo, v7, s13
	v_subrev_co_ci_u32_e64 v8, null, 0, v8, vcc_lo
	v_mul_lo_u32 v9, 0x89, v7
	v_and_b32_e32 v14, 0x1fff, v9
	s_inst_prefetch 0x1
	s_branch .LBB62_10
	.p2align	6
.LBB62_8:                               ;   in Loop: Header=BB62_10 Depth=3
	s_or_b32 exec_lo, exec_lo, s19
	s_andn2_b32 s17, s17, exec_lo
	s_and_b32 s19, s20, exec_lo
	s_or_b32 s17, s17, s19
.LBB62_9:                               ;   in Loop: Header=BB62_10 Depth=3
	s_or_b32 exec_lo, exec_lo, s18
	s_xor_b32 s18, s17, -1
	s_and_b32 s18, exec_lo, s18
	s_or_b32 s16, s18, s16
	s_andn2_b32 exec_lo, exec_lo, s16
	s_cbranch_execz .LBB62_6
.LBB62_10:                              ;   Parent Loop BB62_4 Depth=1
                                        ;     Parent Loop BB62_7 Depth=2
                                        ; =>    This Inner Loop Header: Depth=3
	v_lshl_add_u32 v15, v14, 3, 0
	s_andn2_b32 s17, s17, exec_lo
	s_mov_b32 s18, exec_lo
	ds_read_b64 v[9:10], v15
	s_waitcnt lgkmcnt(0)
	v_cmpx_ne_u64_e64 v[9:10], v[7:8]
	s_cbranch_execz .LBB62_9
; %bb.11:                               ;   in Loop: Header=BB62_10 Depth=3
	s_mov_b32 s19, exec_lo
	v_cmpx_ne_u64_e64 s[44:45], v[9:10]
	s_xor_b32 s19, exec_lo, s19
; %bb.12:                               ;   in Loop: Header=BB62_10 Depth=3
	v_add_nc_u32_e32 v9, 1, v14
                                        ; implicit-def: $vgpr15
	v_and_b32_e32 v14, 0x1fff, v9
; %bb.13:                               ;   in Loop: Header=BB62_10 Depth=3
	s_or_saveexec_b32 s19, s19
	s_mov_b32 s20, -1
	s_xor_b32 exec_lo, exec_lo, s19
	s_cbranch_execz .LBB62_8
; %bb.14:                               ;   in Loop: Header=BB62_10 Depth=3
	v_mov_b32_e32 v9, s44
	v_mov_b32_e32 v10, s45
	ds_cmpst_rtn_b64 v[9:10], v15, v[9:10], v[7:8]
	s_waitcnt lgkmcnt(0)
	v_cmp_ne_u64_e32 vcc_lo, s[44:45], v[9:10]
	s_orn2_b32 s20, vcc_lo, exec_lo
	s_branch .LBB62_8
.LBB62_15:
	s_or_b32 exec_lo, exec_lo, s11
.LBB62_16:
	s_load_dwordx4 s[40:43], s[4:5], 0x48
	s_bfe_u32 s0, s10, 0x10008
	s_cmp_eq_u32 s0, 0
	s_cbranch_scc1 .LBB62_29
; %bb.17:
	s_load_dwordx2 s[0:1], s[4:5], 0x38
	s_waitcnt lgkmcnt(0)
	s_lshl_b64 s[2:3], s[34:35], 3
	v_sub_co_u32 v1, s6, v0, s39
	v_sub_co_ci_u32_e64 v2, null, 0, 0, s6
	s_mov_b32 s6, 0
	s_mov_b32 s7, exec_lo
	s_add_u32 s0, s0, s2
	s_addc_u32 s1, s1, s3
	s_load_dwordx4 s[0:3], s[0:1], 0x0
	s_waitcnt lgkmcnt(0)
	v_add_co_u32 v1, vcc_lo, s0, v1
	v_add_co_ci_u32_e64 v2, null, s1, v2, vcc_lo
	s_sub_u32 s0, s2, s39
	s_subb_u32 s1, s3, 0
	v_cmpx_gt_i64_e64 s[0:1], v[1:2]
	s_cbranch_execz .LBB62_28
; %bb.18:
	s_load_dwordx2 s[2:3], s[4:5], 0x40
	s_mov_b32 s8, s39
	s_branch .LBB62_20
.LBB62_19:                              ;   in Loop: Header=BB62_20 Depth=1
	s_inst_prefetch 0x2
	s_or_b32 exec_lo, exec_lo, s4
	v_add_co_u32 v1, vcc_lo, 0x400, v1
	v_add_co_ci_u32_e64 v2, null, 0, v2, vcc_lo
	v_cmp_le_i64_e32 vcc_lo, s[0:1], v[1:2]
	s_or_b32 s6, vcc_lo, s6
	s_andn2_b32 exec_lo, exec_lo, s6
	s_cbranch_execz .LBB62_28
.LBB62_20:                              ; =>This Loop Header: Depth=1
                                        ;     Child Loop BB62_23 Depth 2
	v_lshlrev_b64 v[3:4], 3, v[1:2]
	s_mov_b32 s4, 0
                                        ; implicit-def: $sgpr5
	s_waitcnt lgkmcnt(0)
	v_add_co_u32 v3, vcc_lo, s2, v3
	v_add_co_ci_u32_e64 v4, null, s3, v4, vcc_lo
	global_load_dwordx2 v[3:4], v[3:4], off
	s_waitcnt vmcnt(0)
	v_sub_co_u32 v3, vcc_lo, v3, s8
	v_subrev_co_ci_u32_e64 v4, null, 0, v4, vcc_lo
	v_mul_lo_u32 v5, 0x89, v3
	v_and_b32_e32 v7, 0x1fff, v5
	s_inst_prefetch 0x1
	s_branch .LBB62_23
	.p2align	6
.LBB62_21:                              ;   in Loop: Header=BB62_23 Depth=2
	s_or_b32 exec_lo, exec_lo, s10
	s_andn2_b32 s5, s5, exec_lo
	s_and_b32 s10, s11, exec_lo
	s_or_b32 s5, s5, s10
.LBB62_22:                              ;   in Loop: Header=BB62_23 Depth=2
	s_or_b32 exec_lo, exec_lo, s9
	s_xor_b32 s9, s5, -1
	s_and_b32 s9, exec_lo, s9
	s_or_b32 s4, s9, s4
	s_andn2_b32 exec_lo, exec_lo, s4
	s_cbranch_execz .LBB62_19
.LBB62_23:                              ;   Parent Loop BB62_20 Depth=1
                                        ; =>  This Inner Loop Header: Depth=2
	v_lshl_add_u32 v8, v7, 3, 0
	s_andn2_b32 s5, s5, exec_lo
	s_mov_b32 s9, exec_lo
	ds_read_b64 v[5:6], v8
	s_waitcnt lgkmcnt(0)
	v_cmpx_ne_u64_e64 v[5:6], v[3:4]
	s_cbranch_execz .LBB62_22
; %bb.24:                               ;   in Loop: Header=BB62_23 Depth=2
	s_mov_b32 s10, exec_lo
	v_cmpx_ne_u64_e64 s[44:45], v[5:6]
	s_xor_b32 s10, exec_lo, s10
; %bb.25:                               ;   in Loop: Header=BB62_23 Depth=2
	v_add_nc_u32_e32 v5, 1, v7
                                        ; implicit-def: $vgpr8
	v_and_b32_e32 v7, 0x1fff, v5
; %bb.26:                               ;   in Loop: Header=BB62_23 Depth=2
	s_or_saveexec_b32 s10, s10
	s_mov_b32 s11, -1
	s_xor_b32 exec_lo, exec_lo, s10
	s_cbranch_execz .LBB62_21
; %bb.27:                               ;   in Loop: Header=BB62_23 Depth=2
	v_mov_b32_e32 v5, s44
	v_mov_b32_e32 v6, s45
	ds_cmpst_rtn_b64 v[5:6], v8, v[5:6], v[3:4]
	s_waitcnt lgkmcnt(0)
	v_cmp_ne_u64_e32 vcc_lo, s[44:45], v[5:6]
	s_orn2_b32 s11, vcc_lo, exec_lo
	s_branch .LBB62_21
.LBB62_28:
	s_or_b32 exec_lo, exec_lo, s7
.LBB62_29:
	v_lshrrev_b32_e32 v2, 2, v0
	v_mbcnt_lo_u32_b32 v1, -1, 0
	v_cmp_lt_u32_e64 s0, 31, v0
	v_cmp_lt_u32_e64 s1, 63, v0
	v_cmp_lt_u32_e64 s2, 0x5f, v0
	v_and_b32_e32 v3, 0xf8, v2
	v_xor_b32_e32 v1, 31, v1
	v_mov_b32_e32 v2, 0
	v_cmp_lt_u32_e64 s3, 0x7f, v0
	v_cmp_lt_u32_e64 s4, 0x9f, v0
	v_add3_u32 v10, 0x10000, 0, v3
	v_mov_b32_e32 v3, 0
	v_lshrrev_b32_e64 v9, v1, -1
	v_cmp_lt_u32_e64 s5, 0xbf, v0
	v_cmp_lt_u32_e64 s6, 0xdf, v0
	;; [unrolled: 1-line block ×26, first 2 shown]
	v_or_b32_e32 v12, 0xfffffc00, v0
	v_mov_b32_e32 v4, 0
	s_waitcnt lgkmcnt(0)
	s_mov_b32 s36, 0
	s_add_i32 s37, 0, 0x10000
	s_add_i32 s39, 0, 0x10008
	;; [unrolled: 1-line block ×32, first 2 shown]
	s_barrier
	v_cmp_eq_u32_e32 vcc_lo, 0x3ff, v0
	buffer_gl0_inv
	s_branch .LBB62_31
.LBB62_30:                              ;   in Loop: Header=BB62_31 Depth=1
	s_or_b32 exec_lo, exec_lo, s31
	v_mov_b32_e32 v1, s75
	s_waitcnt lgkmcnt(0)
	s_barrier
	buffer_gl0_inv
	v_add_nc_u32_e32 v12, 0x400, v12
	ds_read_b64 v[5:6], v1
	v_add_nc_u32_e32 v11, 0x2000, v11
	v_cmp_lt_u32_e64 s31, 0x1bff, v12
	s_or_b32 s36, s31, s36
	s_waitcnt lgkmcnt(0)
	v_add_co_u32 v3, s33, v5, v3
	v_add_co_ci_u32_e64 v4, null, v6, v4, s33
	s_andn2_b32 exec_lo, exec_lo, s36
	s_cbranch_execz .LBB62_97
.LBB62_31:                              ; =>This Inner Loop Header: Depth=1
	ds_read_b64 v[5:6], v11
	s_waitcnt lgkmcnt(0)
	s_barrier
	buffer_gl0_inv
	v_cmp_gt_i64_e64 s31, s[44:45], v[5:6]
	v_and_b32_e32 v7, s31, v9
	s_bcnt1_i32_b32 s33, s31
	v_mov_b32_e32 v1, s33
	v_bcnt_u32_b32 v7, v7, 0
	ds_write_b64 v10, v[1:2]
	s_waitcnt lgkmcnt(0)
	s_barrier
	buffer_gl0_inv
	s_and_saveexec_b32 s33, s0
	s_cbranch_execnz .LBB62_64
; %bb.32:                               ;   in Loop: Header=BB62_31 Depth=1
	s_or_b32 exec_lo, exec_lo, s33
	s_and_saveexec_b32 s33, s1
	s_cbranch_execnz .LBB62_65
.LBB62_33:                              ;   in Loop: Header=BB62_31 Depth=1
	s_or_b32 exec_lo, exec_lo, s33
	s_and_saveexec_b32 s33, s2
	s_cbranch_execnz .LBB62_66
.LBB62_34:                              ;   in Loop: Header=BB62_31 Depth=1
	s_or_b32 exec_lo, exec_lo, s33
	s_and_saveexec_b32 s33, s3
	s_cbranch_execnz .LBB62_67
.LBB62_35:                              ;   in Loop: Header=BB62_31 Depth=1
	s_or_b32 exec_lo, exec_lo, s33
	s_and_saveexec_b32 s33, s4
	s_cbranch_execnz .LBB62_68
.LBB62_36:                              ;   in Loop: Header=BB62_31 Depth=1
	s_or_b32 exec_lo, exec_lo, s33
	s_and_saveexec_b32 s33, s5
	s_cbranch_execnz .LBB62_69
.LBB62_37:                              ;   in Loop: Header=BB62_31 Depth=1
	s_or_b32 exec_lo, exec_lo, s33
	s_and_saveexec_b32 s33, s6
	s_cbranch_execnz .LBB62_70
.LBB62_38:                              ;   in Loop: Header=BB62_31 Depth=1
	s_or_b32 exec_lo, exec_lo, s33
	s_and_saveexec_b32 s33, s7
	s_cbranch_execnz .LBB62_71
.LBB62_39:                              ;   in Loop: Header=BB62_31 Depth=1
	s_or_b32 exec_lo, exec_lo, s33
	s_and_saveexec_b32 s33, s8
	s_cbranch_execnz .LBB62_72
.LBB62_40:                              ;   in Loop: Header=BB62_31 Depth=1
	s_or_b32 exec_lo, exec_lo, s33
	s_and_saveexec_b32 s33, s9
	s_cbranch_execnz .LBB62_73
.LBB62_41:                              ;   in Loop: Header=BB62_31 Depth=1
	s_or_b32 exec_lo, exec_lo, s33
	s_and_saveexec_b32 s33, s10
	s_cbranch_execnz .LBB62_74
.LBB62_42:                              ;   in Loop: Header=BB62_31 Depth=1
	s_or_b32 exec_lo, exec_lo, s33
	s_and_saveexec_b32 s33, s11
	s_cbranch_execnz .LBB62_75
.LBB62_43:                              ;   in Loop: Header=BB62_31 Depth=1
	s_or_b32 exec_lo, exec_lo, s33
	s_and_saveexec_b32 s33, s12
	s_cbranch_execnz .LBB62_76
.LBB62_44:                              ;   in Loop: Header=BB62_31 Depth=1
	s_or_b32 exec_lo, exec_lo, s33
	s_and_saveexec_b32 s33, s13
	s_cbranch_execnz .LBB62_77
.LBB62_45:                              ;   in Loop: Header=BB62_31 Depth=1
	s_or_b32 exec_lo, exec_lo, s33
	s_and_saveexec_b32 s33, s14
	s_cbranch_execnz .LBB62_78
.LBB62_46:                              ;   in Loop: Header=BB62_31 Depth=1
	s_or_b32 exec_lo, exec_lo, s33
	s_and_saveexec_b32 s33, s15
	s_cbranch_execnz .LBB62_79
.LBB62_47:                              ;   in Loop: Header=BB62_31 Depth=1
	s_or_b32 exec_lo, exec_lo, s33
	s_and_saveexec_b32 s33, s16
	s_cbranch_execnz .LBB62_80
.LBB62_48:                              ;   in Loop: Header=BB62_31 Depth=1
	s_or_b32 exec_lo, exec_lo, s33
	s_and_saveexec_b32 s33, s17
	s_cbranch_execnz .LBB62_81
.LBB62_49:                              ;   in Loop: Header=BB62_31 Depth=1
	s_or_b32 exec_lo, exec_lo, s33
	s_and_saveexec_b32 s33, s18
	s_cbranch_execnz .LBB62_82
.LBB62_50:                              ;   in Loop: Header=BB62_31 Depth=1
	s_or_b32 exec_lo, exec_lo, s33
	s_and_saveexec_b32 s33, s19
	s_cbranch_execnz .LBB62_83
.LBB62_51:                              ;   in Loop: Header=BB62_31 Depth=1
	s_or_b32 exec_lo, exec_lo, s33
	s_and_saveexec_b32 s33, s20
	s_cbranch_execnz .LBB62_84
.LBB62_52:                              ;   in Loop: Header=BB62_31 Depth=1
	s_or_b32 exec_lo, exec_lo, s33
	s_and_saveexec_b32 s33, s21
	s_cbranch_execnz .LBB62_85
.LBB62_53:                              ;   in Loop: Header=BB62_31 Depth=1
	s_or_b32 exec_lo, exec_lo, s33
	s_and_saveexec_b32 s33, s22
	s_cbranch_execnz .LBB62_86
.LBB62_54:                              ;   in Loop: Header=BB62_31 Depth=1
	s_or_b32 exec_lo, exec_lo, s33
	s_and_saveexec_b32 s33, s23
	s_cbranch_execnz .LBB62_87
.LBB62_55:                              ;   in Loop: Header=BB62_31 Depth=1
	s_or_b32 exec_lo, exec_lo, s33
	s_and_saveexec_b32 s33, s24
	s_cbranch_execnz .LBB62_88
.LBB62_56:                              ;   in Loop: Header=BB62_31 Depth=1
	s_or_b32 exec_lo, exec_lo, s33
	s_and_saveexec_b32 s33, s25
	s_cbranch_execnz .LBB62_89
.LBB62_57:                              ;   in Loop: Header=BB62_31 Depth=1
	s_or_b32 exec_lo, exec_lo, s33
	s_and_saveexec_b32 s33, s26
	s_cbranch_execnz .LBB62_90
.LBB62_58:                              ;   in Loop: Header=BB62_31 Depth=1
	s_or_b32 exec_lo, exec_lo, s33
	s_and_saveexec_b32 s33, s27
	s_cbranch_execnz .LBB62_91
.LBB62_59:                              ;   in Loop: Header=BB62_31 Depth=1
	s_or_b32 exec_lo, exec_lo, s33
	s_and_saveexec_b32 s33, s28
	s_cbranch_execnz .LBB62_92
.LBB62_60:                              ;   in Loop: Header=BB62_31 Depth=1
	s_or_b32 exec_lo, exec_lo, s33
	s_and_saveexec_b32 s33, s29
	s_cbranch_execnz .LBB62_93
.LBB62_61:                              ;   in Loop: Header=BB62_31 Depth=1
	s_or_b32 exec_lo, exec_lo, s33
	s_and_saveexec_b32 s33, s30
	s_cbranch_execnz .LBB62_94
.LBB62_62:                              ;   in Loop: Header=BB62_31 Depth=1
	s_or_b32 exec_lo, exec_lo, s33
	v_ashrrev_i32_e32 v8, 31, v7
	s_and_saveexec_b32 s33, s31
	s_cbranch_execnz .LBB62_95
.LBB62_63:                              ;   in Loop: Header=BB62_31 Depth=1
	s_or_b32 exec_lo, exec_lo, s33
	s_and_saveexec_b32 s31, vcc_lo
	s_cbranch_execz .LBB62_30
	s_branch .LBB62_96
.LBB62_64:                              ;   in Loop: Header=BB62_31 Depth=1
	v_mov_b32_e32 v1, s37
	ds_read_b32 v1, v1
	s_waitcnt lgkmcnt(0)
	v_add_nc_u32_e32 v7, v1, v7
	s_or_b32 exec_lo, exec_lo, s33
	s_and_saveexec_b32 s33, s1
	s_cbranch_execz .LBB62_33
.LBB62_65:                              ;   in Loop: Header=BB62_31 Depth=1
	v_mov_b32_e32 v1, s39
	ds_read_b32 v1, v1
	s_waitcnt lgkmcnt(0)
	v_add_nc_u32_e32 v7, v7, v1
	s_or_b32 exec_lo, exec_lo, s33
	s_and_saveexec_b32 s33, s2
	s_cbranch_execz .LBB62_34
.LBB62_66:                              ;   in Loop: Header=BB62_31 Depth=1
	v_mov_b32_e32 v1, s46
	ds_read_b32 v1, v1
	s_waitcnt lgkmcnt(0)
	v_add_nc_u32_e32 v7, v7, v1
	s_or_b32 exec_lo, exec_lo, s33
	s_and_saveexec_b32 s33, s3
	s_cbranch_execz .LBB62_35
.LBB62_67:                              ;   in Loop: Header=BB62_31 Depth=1
	v_mov_b32_e32 v1, s47
	ds_read_b32 v1, v1
	s_waitcnt lgkmcnt(0)
	v_add_nc_u32_e32 v7, v7, v1
	s_or_b32 exec_lo, exec_lo, s33
	s_and_saveexec_b32 s33, s4
	s_cbranch_execz .LBB62_36
.LBB62_68:                              ;   in Loop: Header=BB62_31 Depth=1
	v_mov_b32_e32 v1, s48
	ds_read_b32 v1, v1
	s_waitcnt lgkmcnt(0)
	v_add_nc_u32_e32 v7, v7, v1
	s_or_b32 exec_lo, exec_lo, s33
	s_and_saveexec_b32 s33, s5
	s_cbranch_execz .LBB62_37
.LBB62_69:                              ;   in Loop: Header=BB62_31 Depth=1
	v_mov_b32_e32 v1, s49
	ds_read_b32 v1, v1
	s_waitcnt lgkmcnt(0)
	v_add_nc_u32_e32 v7, v7, v1
	s_or_b32 exec_lo, exec_lo, s33
	s_and_saveexec_b32 s33, s6
	s_cbranch_execz .LBB62_38
.LBB62_70:                              ;   in Loop: Header=BB62_31 Depth=1
	v_mov_b32_e32 v1, s50
	ds_read_b32 v1, v1
	s_waitcnt lgkmcnt(0)
	v_add_nc_u32_e32 v7, v7, v1
	s_or_b32 exec_lo, exec_lo, s33
	s_and_saveexec_b32 s33, s7
	s_cbranch_execz .LBB62_39
.LBB62_71:                              ;   in Loop: Header=BB62_31 Depth=1
	v_mov_b32_e32 v1, s51
	ds_read_b32 v1, v1
	s_waitcnt lgkmcnt(0)
	v_add_nc_u32_e32 v7, v7, v1
	s_or_b32 exec_lo, exec_lo, s33
	s_and_saveexec_b32 s33, s8
	s_cbranch_execz .LBB62_40
.LBB62_72:                              ;   in Loop: Header=BB62_31 Depth=1
	v_mov_b32_e32 v1, s52
	ds_read_b32 v1, v1
	s_waitcnt lgkmcnt(0)
	v_add_nc_u32_e32 v7, v7, v1
	s_or_b32 exec_lo, exec_lo, s33
	s_and_saveexec_b32 s33, s9
	s_cbranch_execz .LBB62_41
.LBB62_73:                              ;   in Loop: Header=BB62_31 Depth=1
	v_mov_b32_e32 v1, s53
	ds_read_b32 v1, v1
	s_waitcnt lgkmcnt(0)
	v_add_nc_u32_e32 v7, v7, v1
	s_or_b32 exec_lo, exec_lo, s33
	s_and_saveexec_b32 s33, s10
	s_cbranch_execz .LBB62_42
.LBB62_74:                              ;   in Loop: Header=BB62_31 Depth=1
	v_mov_b32_e32 v1, s54
	ds_read_b32 v1, v1
	s_waitcnt lgkmcnt(0)
	v_add_nc_u32_e32 v7, v7, v1
	s_or_b32 exec_lo, exec_lo, s33
	s_and_saveexec_b32 s33, s11
	s_cbranch_execz .LBB62_43
.LBB62_75:                              ;   in Loop: Header=BB62_31 Depth=1
	v_mov_b32_e32 v1, s55
	ds_read_b32 v1, v1
	s_waitcnt lgkmcnt(0)
	v_add_nc_u32_e32 v7, v7, v1
	s_or_b32 exec_lo, exec_lo, s33
	s_and_saveexec_b32 s33, s12
	s_cbranch_execz .LBB62_44
.LBB62_76:                              ;   in Loop: Header=BB62_31 Depth=1
	v_mov_b32_e32 v1, s56
	ds_read_b32 v1, v1
	s_waitcnt lgkmcnt(0)
	v_add_nc_u32_e32 v7, v7, v1
	s_or_b32 exec_lo, exec_lo, s33
	s_and_saveexec_b32 s33, s13
	s_cbranch_execz .LBB62_45
.LBB62_77:                              ;   in Loop: Header=BB62_31 Depth=1
	v_mov_b32_e32 v1, s57
	ds_read_b32 v1, v1
	s_waitcnt lgkmcnt(0)
	v_add_nc_u32_e32 v7, v7, v1
	s_or_b32 exec_lo, exec_lo, s33
	s_and_saveexec_b32 s33, s14
	s_cbranch_execz .LBB62_46
.LBB62_78:                              ;   in Loop: Header=BB62_31 Depth=1
	v_mov_b32_e32 v1, s58
	ds_read_b32 v1, v1
	s_waitcnt lgkmcnt(0)
	v_add_nc_u32_e32 v7, v7, v1
	s_or_b32 exec_lo, exec_lo, s33
	s_and_saveexec_b32 s33, s15
	s_cbranch_execz .LBB62_47
.LBB62_79:                              ;   in Loop: Header=BB62_31 Depth=1
	v_mov_b32_e32 v1, s59
	ds_read_b32 v1, v1
	s_waitcnt lgkmcnt(0)
	v_add_nc_u32_e32 v7, v7, v1
	s_or_b32 exec_lo, exec_lo, s33
	s_and_saveexec_b32 s33, s16
	s_cbranch_execz .LBB62_48
.LBB62_80:                              ;   in Loop: Header=BB62_31 Depth=1
	v_mov_b32_e32 v1, s60
	ds_read_b32 v1, v1
	s_waitcnt lgkmcnt(0)
	v_add_nc_u32_e32 v7, v7, v1
	s_or_b32 exec_lo, exec_lo, s33
	s_and_saveexec_b32 s33, s17
	s_cbranch_execz .LBB62_49
.LBB62_81:                              ;   in Loop: Header=BB62_31 Depth=1
	v_mov_b32_e32 v1, s61
	ds_read_b32 v1, v1
	s_waitcnt lgkmcnt(0)
	v_add_nc_u32_e32 v7, v7, v1
	s_or_b32 exec_lo, exec_lo, s33
	s_and_saveexec_b32 s33, s18
	s_cbranch_execz .LBB62_50
.LBB62_82:                              ;   in Loop: Header=BB62_31 Depth=1
	v_mov_b32_e32 v1, s62
	ds_read_b32 v1, v1
	s_waitcnt lgkmcnt(0)
	v_add_nc_u32_e32 v7, v7, v1
	s_or_b32 exec_lo, exec_lo, s33
	s_and_saveexec_b32 s33, s19
	s_cbranch_execz .LBB62_51
.LBB62_83:                              ;   in Loop: Header=BB62_31 Depth=1
	v_mov_b32_e32 v1, s63
	ds_read_b32 v1, v1
	s_waitcnt lgkmcnt(0)
	v_add_nc_u32_e32 v7, v7, v1
	s_or_b32 exec_lo, exec_lo, s33
	s_and_saveexec_b32 s33, s20
	s_cbranch_execz .LBB62_52
.LBB62_84:                              ;   in Loop: Header=BB62_31 Depth=1
	v_mov_b32_e32 v1, s64
	ds_read_b32 v1, v1
	s_waitcnt lgkmcnt(0)
	v_add_nc_u32_e32 v7, v7, v1
	s_or_b32 exec_lo, exec_lo, s33
	s_and_saveexec_b32 s33, s21
	s_cbranch_execz .LBB62_53
.LBB62_85:                              ;   in Loop: Header=BB62_31 Depth=1
	v_mov_b32_e32 v1, s65
	ds_read_b32 v1, v1
	s_waitcnt lgkmcnt(0)
	v_add_nc_u32_e32 v7, v7, v1
	s_or_b32 exec_lo, exec_lo, s33
	s_and_saveexec_b32 s33, s22
	s_cbranch_execz .LBB62_54
.LBB62_86:                              ;   in Loop: Header=BB62_31 Depth=1
	v_mov_b32_e32 v1, s66
	ds_read_b32 v1, v1
	s_waitcnt lgkmcnt(0)
	v_add_nc_u32_e32 v7, v7, v1
	s_or_b32 exec_lo, exec_lo, s33
	s_and_saveexec_b32 s33, s23
	s_cbranch_execz .LBB62_55
.LBB62_87:                              ;   in Loop: Header=BB62_31 Depth=1
	v_mov_b32_e32 v1, s67
	ds_read_b32 v1, v1
	s_waitcnt lgkmcnt(0)
	v_add_nc_u32_e32 v7, v7, v1
	s_or_b32 exec_lo, exec_lo, s33
	s_and_saveexec_b32 s33, s24
	s_cbranch_execz .LBB62_56
.LBB62_88:                              ;   in Loop: Header=BB62_31 Depth=1
	v_mov_b32_e32 v1, s68
	ds_read_b32 v1, v1
	s_waitcnt lgkmcnt(0)
	v_add_nc_u32_e32 v7, v7, v1
	s_or_b32 exec_lo, exec_lo, s33
	s_and_saveexec_b32 s33, s25
	s_cbranch_execz .LBB62_57
.LBB62_89:                              ;   in Loop: Header=BB62_31 Depth=1
	v_mov_b32_e32 v1, s69
	ds_read_b32 v1, v1
	s_waitcnt lgkmcnt(0)
	v_add_nc_u32_e32 v7, v7, v1
	s_or_b32 exec_lo, exec_lo, s33
	s_and_saveexec_b32 s33, s26
	s_cbranch_execz .LBB62_58
.LBB62_90:                              ;   in Loop: Header=BB62_31 Depth=1
	v_mov_b32_e32 v1, s70
	ds_read_b32 v1, v1
	s_waitcnt lgkmcnt(0)
	v_add_nc_u32_e32 v7, v7, v1
	s_or_b32 exec_lo, exec_lo, s33
	s_and_saveexec_b32 s33, s27
	s_cbranch_execz .LBB62_59
.LBB62_91:                              ;   in Loop: Header=BB62_31 Depth=1
	v_mov_b32_e32 v1, s71
	ds_read_b32 v1, v1
	s_waitcnt lgkmcnt(0)
	v_add_nc_u32_e32 v7, v7, v1
	s_or_b32 exec_lo, exec_lo, s33
	s_and_saveexec_b32 s33, s28
	s_cbranch_execz .LBB62_60
.LBB62_92:                              ;   in Loop: Header=BB62_31 Depth=1
	v_mov_b32_e32 v1, s72
	ds_read_b32 v1, v1
	s_waitcnt lgkmcnt(0)
	v_add_nc_u32_e32 v7, v7, v1
	s_or_b32 exec_lo, exec_lo, s33
	s_and_saveexec_b32 s33, s29
	s_cbranch_execz .LBB62_61
.LBB62_93:                              ;   in Loop: Header=BB62_31 Depth=1
	v_mov_b32_e32 v1, s73
	ds_read_b32 v1, v1
	s_waitcnt lgkmcnt(0)
	v_add_nc_u32_e32 v7, v7, v1
	s_or_b32 exec_lo, exec_lo, s33
	s_and_saveexec_b32 s33, s30
	s_cbranch_execz .LBB62_62
.LBB62_94:                              ;   in Loop: Header=BB62_31 Depth=1
	v_mov_b32_e32 v1, s74
	ds_read_b32 v1, v1
	s_waitcnt lgkmcnt(0)
	v_add_nc_u32_e32 v7, v7, v1
	s_or_b32 exec_lo, exec_lo, s33
	v_ashrrev_i32_e32 v8, 31, v7
	s_and_saveexec_b32 s33, s31
	s_cbranch_execz .LBB62_63
.LBB62_95:                              ;   in Loop: Header=BB62_31 Depth=1
	v_lshlrev_b32_e32 v1, 3, v3
	v_lshlrev_b32_e32 v13, 3, v7
	v_add_nc_u32_e32 v1, 0, v1
	v_add3_u32 v1, v1, v13, -8
	ds_write_b64 v1, v[5:6]
	s_or_b32 exec_lo, exec_lo, s33
	s_and_saveexec_b32 s31, vcc_lo
	s_cbranch_execz .LBB62_30
.LBB62_96:                              ;   in Loop: Header=BB62_31 Depth=1
	v_mov_b32_e32 v1, s75
	ds_write_b64 v1, v[7:8]
	s_branch .LBB62_30
.LBB62_97:
	s_or_b32 exec_lo, exec_lo, s36
	s_lshl_b64 s[0:1], s[34:35], 3
	v_mov_b32_e32 v1, 0
	s_add_u32 s0, s40, s0
	s_addc_u32 s1, s41, s1
	s_mov_b32 s6, exec_lo
	s_load_dwordx4 s[0:3], s[0:1], 0x0
	s_waitcnt lgkmcnt(0)
	s_sub_u32 s4, s2, s0
	s_subb_u32 s5, s3, s1
	v_cmpx_gt_i64_e64 s[4:5], v[0:1]
	s_cbranch_execz .LBB62_107
; %bb.98:
	s_sub_u32 s8, s0, s38
	s_subb_u32 s9, s1, 0
	s_and_b32 s6, s4, 7
	s_sub_u32 s0, s0, s2
	s_subb_u32 s1, s1, s3
	s_mov_b32 s7, 0
	v_cmp_lt_u64_e64 s12, s[0:1], -7
	s_and_b32 s2, s4, -8
	s_cmp_lg_u64 s[6:7], 0
	s_mov_b32 s3, s5
	s_cselect_b32 s13, -1, 0
	s_mov_b32 s14, s7
	s_branch .LBB62_100
.LBB62_99:                              ;   in Loop: Header=BB62_100 Depth=1
	v_add_co_u32 v0, vcc_lo, 0x400, v0
	v_lshlrev_b64 v[4:5], 3, v[4:5]
	v_add_co_ci_u32_e64 v1, null, 0, v1, vcc_lo
	s_waitcnt lgkmcnt(0)
	v_add_co_u32 v2, vcc_lo, v2, s38
	v_add_co_ci_u32_e64 v3, null, 0, v3, vcc_lo
	v_cmp_le_i64_e32 vcc_lo, s[4:5], v[0:1]
	v_add_co_u32 v4, s0, s42, v4
	v_add_co_ci_u32_e64 v5, null, s43, v5, s0
	s_or_b32 s14, vcc_lo, s14
	global_store_dwordx2 v[4:5], v[2:3], off
	s_andn2_b32 exec_lo, exec_lo, s14
	s_cbranch_execz .LBB62_107
.LBB62_100:                             ; =>This Loop Header: Depth=1
                                        ;     Child Loop BB62_102 Depth 2
                                        ;     Child Loop BB62_106 Depth 2
	v_lshl_add_u32 v2, v0, 3, 0
	v_mov_b32_e32 v4, s8
	v_mov_b32_e32 v5, s9
	s_andn2_b32 vcc_lo, exec_lo, s12
	s_mov_b64 s[0:1], 0
	ds_read_b64 v[2:3], v2
	s_cbranch_vccnz .LBB62_104
; %bb.101:                              ;   in Loop: Header=BB62_100 Depth=1
	v_mov_b32_e32 v4, s8
	v_mov_b32_e32 v5, s9
	s_mov_b64 s[10:11], 0
	s_mov_b32 s1, 0
.LBB62_102:                             ;   Parent Loop BB62_100 Depth=1
                                        ; =>  This Inner Loop Header: Depth=2
	v_mov_b32_e32 v18, s1
	s_add_u32 s10, s10, 8
	s_addc_u32 s11, s11, 0
	s_add_i32 s1, s1, 64
	s_cmp_eq_u64 s[2:3], s[10:11]
	ds_read2_b64 v[6:9], v18 offset1:1
	ds_read2_b64 v[10:13], v18 offset0:2 offset1:3
	ds_read2_b64 v[14:17], v18 offset0:4 offset1:5
	;; [unrolled: 1-line block ×3, first 2 shown]
	s_waitcnt lgkmcnt(3)
	v_cmp_gt_i64_e32 vcc_lo, v[2:3], v[6:7]
	v_cndmask_b32_e64 v6, 0, 1, vcc_lo
	v_cmp_gt_i64_e32 vcc_lo, v[2:3], v[8:9]
	v_cndmask_b32_e64 v7, 0, 1, vcc_lo
	s_waitcnt lgkmcnt(2)
	v_cmp_gt_i64_e32 vcc_lo, v[2:3], v[10:11]
	v_cndmask_b32_e64 v8, 0, 1, vcc_lo
	v_cmp_gt_i64_e32 vcc_lo, v[2:3], v[12:13]
	v_cndmask_b32_e64 v9, 0, 1, vcc_lo
	s_waitcnt lgkmcnt(1)
	v_cmp_gt_i64_e32 vcc_lo, v[2:3], v[14:15]
	v_cndmask_b32_e64 v10, 0, 1, vcc_lo
	v_add_co_u32 v4, vcc_lo, v4, v6
	v_add_co_ci_u32_e64 v5, null, 0, v5, vcc_lo
	v_cmp_gt_i64_e32 vcc_lo, v[2:3], v[16:17]
	v_add_co_u32 v4, s0, v4, v7
	v_add_co_ci_u32_e64 v5, null, 0, v5, s0
	v_cndmask_b32_e64 v6, 0, 1, vcc_lo
	v_add_co_u32 v4, vcc_lo, v4, v8
	v_add_co_ci_u32_e64 v5, null, 0, v5, vcc_lo
	s_waitcnt lgkmcnt(0)
	v_cmp_gt_i64_e32 vcc_lo, v[2:3], v[18:19]
	v_add_co_u32 v4, s0, v4, v9
	v_add_co_ci_u32_e64 v5, null, 0, v5, s0
	v_cndmask_b32_e64 v7, 0, 1, vcc_lo
	v_add_co_u32 v4, vcc_lo, v4, v10
	v_add_co_ci_u32_e64 v5, null, 0, v5, vcc_lo
	v_cmp_gt_i64_e32 vcc_lo, v[2:3], v[20:21]
	v_add_co_u32 v4, s0, v4, v6
	v_add_co_ci_u32_e64 v5, null, 0, v5, s0
	v_cndmask_b32_e64 v6, 0, 1, vcc_lo
	v_add_co_u32 v4, vcc_lo, v4, v7
	v_add_co_ci_u32_e64 v5, null, 0, v5, vcc_lo
	v_add_co_u32 v4, vcc_lo, v4, v6
	v_add_co_ci_u32_e64 v5, null, 0, v5, vcc_lo
	s_cbranch_scc0 .LBB62_102
; %bb.103:                              ;   in Loop: Header=BB62_100 Depth=1
	s_mov_b64 s[0:1], s[2:3]
.LBB62_104:                             ;   in Loop: Header=BB62_100 Depth=1
	s_andn2_b32 vcc_lo, exec_lo, s13
	s_cbranch_vccnz .LBB62_99
; %bb.105:                              ;   in Loop: Header=BB62_100 Depth=1
	s_lshl_b32 s0, s0, 3
	s_add_i32 s10, s0, 0
	s_mov_b64 s[0:1], s[6:7]
.LBB62_106:                             ;   Parent Loop BB62_100 Depth=1
                                        ; =>  This Inner Loop Header: Depth=2
	v_mov_b32_e32 v6, s10
	s_add_i32 s10, s10, 8
	s_add_u32 s0, s0, -1
	s_addc_u32 s1, s1, -1
	s_cmp_lg_u64 s[0:1], 0
	ds_read_b64 v[6:7], v6
	s_waitcnt lgkmcnt(0)
	v_cmp_gt_i64_e32 vcc_lo, v[2:3], v[6:7]
	v_cndmask_b32_e64 v6, 0, 1, vcc_lo
	v_add_co_u32 v4, vcc_lo, v4, v6
	v_add_co_ci_u32_e64 v5, null, 0, v5, vcc_lo
	s_cbranch_scc1 .LBB62_106
	s_branch .LBB62_99
.LBB62_107:
	s_endpgm
	.section	.rodata,"a",@progbits
	.p2align	6, 0x0
	.amdhsa_kernel _ZN9rocsparseL35csrgemm_symbolic_fill_block_per_rowILj1024ELj64ELj8192ELj137ELj32EllEEvT5_PKS1_S3_PKT4_S3_S6_S3_S6_S3_S6_PS1_21rocsparse_index_base_S8_S8_S8_bb
		.amdhsa_group_segment_fixed_size 0
		.amdhsa_private_segment_fixed_size 0
		.amdhsa_kernarg_size 108
		.amdhsa_user_sgpr_count 6
		.amdhsa_user_sgpr_private_segment_buffer 1
		.amdhsa_user_sgpr_dispatch_ptr 0
		.amdhsa_user_sgpr_queue_ptr 0
		.amdhsa_user_sgpr_kernarg_segment_ptr 1
		.amdhsa_user_sgpr_dispatch_id 0
		.amdhsa_user_sgpr_flat_scratch_init 0
		.amdhsa_user_sgpr_private_segment_size 0
		.amdhsa_wavefront_size32 1
		.amdhsa_uses_dynamic_stack 0
		.amdhsa_system_sgpr_private_segment_wavefront_offset 0
		.amdhsa_system_sgpr_workgroup_id_x 1
		.amdhsa_system_sgpr_workgroup_id_y 0
		.amdhsa_system_sgpr_workgroup_id_z 0
		.amdhsa_system_sgpr_workgroup_info 0
		.amdhsa_system_vgpr_workitem_id 0
		.amdhsa_next_free_vgpr 22
		.amdhsa_next_free_sgpr 76
		.amdhsa_reserve_vcc 1
		.amdhsa_reserve_flat_scratch 0
		.amdhsa_float_round_mode_32 0
		.amdhsa_float_round_mode_16_64 0
		.amdhsa_float_denorm_mode_32 3
		.amdhsa_float_denorm_mode_16_64 3
		.amdhsa_dx10_clamp 1
		.amdhsa_ieee_mode 1
		.amdhsa_fp16_overflow 0
		.amdhsa_workgroup_processor_mode 1
		.amdhsa_memory_ordered 1
		.amdhsa_forward_progress 1
		.amdhsa_shared_vgpr_count 0
		.amdhsa_exception_fp_ieee_invalid_op 0
		.amdhsa_exception_fp_denorm_src 0
		.amdhsa_exception_fp_ieee_div_zero 0
		.amdhsa_exception_fp_ieee_overflow 0
		.amdhsa_exception_fp_ieee_underflow 0
		.amdhsa_exception_fp_ieee_inexact 0
		.amdhsa_exception_int_div_zero 0
	.end_amdhsa_kernel
	.section	.text._ZN9rocsparseL35csrgemm_symbolic_fill_block_per_rowILj1024ELj64ELj8192ELj137ELj32EllEEvT5_PKS1_S3_PKT4_S3_S6_S3_S6_S3_S6_PS1_21rocsparse_index_base_S8_S8_S8_bb,"axG",@progbits,_ZN9rocsparseL35csrgemm_symbolic_fill_block_per_rowILj1024ELj64ELj8192ELj137ELj32EllEEvT5_PKS1_S3_PKT4_S3_S6_S3_S6_S3_S6_PS1_21rocsparse_index_base_S8_S8_S8_bb,comdat
.Lfunc_end62:
	.size	_ZN9rocsparseL35csrgemm_symbolic_fill_block_per_rowILj1024ELj64ELj8192ELj137ELj32EllEEvT5_PKS1_S3_PKT4_S3_S6_S3_S6_S3_S6_PS1_21rocsparse_index_base_S8_S8_S8_bb, .Lfunc_end62-_ZN9rocsparseL35csrgemm_symbolic_fill_block_per_rowILj1024ELj64ELj8192ELj137ELj32EllEEvT5_PKS1_S3_PKT4_S3_S6_S3_S6_S3_S6_PS1_21rocsparse_index_base_S8_S8_S8_bb
                                        ; -- End function
	.set _ZN9rocsparseL35csrgemm_symbolic_fill_block_per_rowILj1024ELj64ELj8192ELj137ELj32EllEEvT5_PKS1_S3_PKT4_S3_S6_S3_S6_S3_S6_PS1_21rocsparse_index_base_S8_S8_S8_bb.num_vgpr, 22
	.set _ZN9rocsparseL35csrgemm_symbolic_fill_block_per_rowILj1024ELj64ELj8192ELj137ELj32EllEEvT5_PKS1_S3_PKT4_S3_S6_S3_S6_S3_S6_PS1_21rocsparse_index_base_S8_S8_S8_bb.num_agpr, 0
	.set _ZN9rocsparseL35csrgemm_symbolic_fill_block_per_rowILj1024ELj64ELj8192ELj137ELj32EllEEvT5_PKS1_S3_PKT4_S3_S6_S3_S6_S3_S6_PS1_21rocsparse_index_base_S8_S8_S8_bb.numbered_sgpr, 76
	.set _ZN9rocsparseL35csrgemm_symbolic_fill_block_per_rowILj1024ELj64ELj8192ELj137ELj32EllEEvT5_PKS1_S3_PKT4_S3_S6_S3_S6_S3_S6_PS1_21rocsparse_index_base_S8_S8_S8_bb.num_named_barrier, 0
	.set _ZN9rocsparseL35csrgemm_symbolic_fill_block_per_rowILj1024ELj64ELj8192ELj137ELj32EllEEvT5_PKS1_S3_PKT4_S3_S6_S3_S6_S3_S6_PS1_21rocsparse_index_base_S8_S8_S8_bb.private_seg_size, 0
	.set _ZN9rocsparseL35csrgemm_symbolic_fill_block_per_rowILj1024ELj64ELj8192ELj137ELj32EllEEvT5_PKS1_S3_PKT4_S3_S6_S3_S6_S3_S6_PS1_21rocsparse_index_base_S8_S8_S8_bb.uses_vcc, 1
	.set _ZN9rocsparseL35csrgemm_symbolic_fill_block_per_rowILj1024ELj64ELj8192ELj137ELj32EllEEvT5_PKS1_S3_PKT4_S3_S6_S3_S6_S3_S6_PS1_21rocsparse_index_base_S8_S8_S8_bb.uses_flat_scratch, 0
	.set _ZN9rocsparseL35csrgemm_symbolic_fill_block_per_rowILj1024ELj64ELj8192ELj137ELj32EllEEvT5_PKS1_S3_PKT4_S3_S6_S3_S6_S3_S6_PS1_21rocsparse_index_base_S8_S8_S8_bb.has_dyn_sized_stack, 0
	.set _ZN9rocsparseL35csrgemm_symbolic_fill_block_per_rowILj1024ELj64ELj8192ELj137ELj32EllEEvT5_PKS1_S3_PKT4_S3_S6_S3_S6_S3_S6_PS1_21rocsparse_index_base_S8_S8_S8_bb.has_recursion, 0
	.set _ZN9rocsparseL35csrgemm_symbolic_fill_block_per_rowILj1024ELj64ELj8192ELj137ELj32EllEEvT5_PKS1_S3_PKT4_S3_S6_S3_S6_S3_S6_PS1_21rocsparse_index_base_S8_S8_S8_bb.has_indirect_call, 0
	.section	.AMDGPU.csdata,"",@progbits
; Kernel info:
; codeLenInByte = 4292
; TotalNumSgprs: 78
; NumVgprs: 22
; ScratchSize: 0
; MemoryBound: 0
; FloatMode: 240
; IeeeMode: 1
; LDSByteSize: 0 bytes/workgroup (compile time only)
; SGPRBlocks: 0
; VGPRBlocks: 2
; NumSGPRsForWavesPerEU: 78
; NumVGPRsForWavesPerEU: 22
; Occupancy: 16
; WaveLimiterHint : 1
; COMPUTE_PGM_RSRC2:SCRATCH_EN: 0
; COMPUTE_PGM_RSRC2:USER_SGPR: 6
; COMPUTE_PGM_RSRC2:TRAP_HANDLER: 0
; COMPUTE_PGM_RSRC2:TGID_X_EN: 1
; COMPUTE_PGM_RSRC2:TGID_Y_EN: 0
; COMPUTE_PGM_RSRC2:TGID_Z_EN: 0
; COMPUTE_PGM_RSRC2:TIDIG_COMP_CNT: 0
	.section	.text._ZN9rocsparseL35csrgemm_symbolic_fill_block_per_rowILj1024ELj64ELj8192ELj137ELj64EllEEvT5_PKS1_S3_PKT4_S3_S6_S3_S6_S3_S6_PS1_21rocsparse_index_base_S8_S8_S8_bb,"axG",@progbits,_ZN9rocsparseL35csrgemm_symbolic_fill_block_per_rowILj1024ELj64ELj8192ELj137ELj64EllEEvT5_PKS1_S3_PKT4_S3_S6_S3_S6_S3_S6_PS1_21rocsparse_index_base_S8_S8_S8_bb,comdat
	.globl	_ZN9rocsparseL35csrgemm_symbolic_fill_block_per_rowILj1024ELj64ELj8192ELj137ELj64EllEEvT5_PKS1_S3_PKT4_S3_S6_S3_S6_S3_S6_PS1_21rocsparse_index_base_S8_S8_S8_bb ; -- Begin function _ZN9rocsparseL35csrgemm_symbolic_fill_block_per_rowILj1024ELj64ELj8192ELj137ELj64EllEEvT5_PKS1_S3_PKT4_S3_S6_S3_S6_S3_S6_PS1_21rocsparse_index_base_S8_S8_S8_bb
	.p2align	8
	.type	_ZN9rocsparseL35csrgemm_symbolic_fill_block_per_rowILj1024ELj64ELj8192ELj137ELj64EllEEvT5_PKS1_S3_PKT4_S3_S6_S3_S6_S3_S6_PS1_21rocsparse_index_base_S8_S8_S8_bb,@function
_ZN9rocsparseL35csrgemm_symbolic_fill_block_per_rowILj1024ELj64ELj8192ELj137ELj64EllEEvT5_PKS1_S3_PKT4_S3_S6_S3_S6_S3_S6_PS1_21rocsparse_index_base_S8_S8_S8_bb: ; @_ZN9rocsparseL35csrgemm_symbolic_fill_block_per_rowILj1024ELj64ELj8192ELj137ELj64EllEEvT5_PKS1_S3_PKT4_S3_S6_S3_S6_S3_S6_PS1_21rocsparse_index_base_S8_S8_S8_bb
; %bb.0:
	s_clause 0x1
	s_load_dwordx4 s[24:27], s[4:5], 0x0
	s_load_dwordx2 s[0:1], s[4:5], 0x10
	v_lshl_add_u32 v11, v0, 3, 0
	s_mov_b32 s7, 0
	s_load_dword s10, s[4:5], 0x68
	s_waitcnt lgkmcnt(0)
	v_mov_b32_e32 v1, s24
	v_mov_b32_e32 v3, s24
	;; [unrolled: 1-line block ×16, first 2 shown]
	ds_write2st64_b64 v11, v[1:2], v[3:4] offset1:16
	ds_write2st64_b64 v11, v[5:6], v[7:8] offset0:32 offset1:48
	ds_write2st64_b64 v11, v[9:10], v[12:13] offset0:64 offset1:80
	;; [unrolled: 1-line block ×3, first 2 shown]
	s_waitcnt lgkmcnt(0)
	s_barrier
	buffer_gl0_inv
	s_load_dwordx2 s[2:3], s[26:27], 0x0
	v_lshrrev_b32_e32 v12, 6, v0
	s_waitcnt lgkmcnt(0)
	s_lshl_b64 s[2:3], s[2:3], 3
	s_add_u32 s2, s0, s2
	s_addc_u32 s3, s1, s3
	s_lshl_b64 s[0:1], s[6:7], 3
	s_add_u32 s0, s2, s0
	s_addc_u32 s1, s3, s1
	s_load_dwordx4 s[16:19], s[4:5], 0x58
	s_load_dwordx2 s[26:27], s[0:1], 0x0
	s_bitcmp0_b32 s10, 0
	s_cbranch_scc1 .LBB63_16
; %bb.1:
	s_load_dwordx2 s[0:1], s[4:5], 0x18
	s_waitcnt lgkmcnt(0)
	s_lshl_b64 s[2:3], s[26:27], 3
	v_sub_co_u32 v1, s6, v12, s16
	v_sub_co_ci_u32_e64 v2, null, 0, 0, s6
	s_mov_b32 s11, exec_lo
	s_add_u32 s0, s0, s2
	s_addc_u32 s1, s1, s3
	s_load_dwordx4 s[0:3], s[0:1], 0x0
	s_waitcnt lgkmcnt(0)
	v_add_co_u32 v1, vcc_lo, s0, v1
	v_add_co_ci_u32_e64 v2, null, s1, v2, vcc_lo
	s_sub_u32 s6, s2, s16
	s_subb_u32 s7, s3, 0
	v_cmpx_gt_i64_e64 s[6:7], v[1:2]
	s_cbranch_execz .LBB63_15
; %bb.2:
	s_clause 0x1
	s_load_dwordx4 s[0:3], s[4:5], 0x20
	s_load_dwordx2 s[8:9], s[4:5], 0x30
	v_and_b32_e32 v3, 63, v0
	s_mov_b32 s13, s17
	v_sub_co_u32 v13, s12, v3, s17
	v_sub_co_ci_u32_e64 v14, null, 0, 0, s12
	s_mov_b32 s12, 0
	s_branch .LBB63_4
.LBB63_3:                               ;   in Loop: Header=BB63_4 Depth=1
	s_or_b32 exec_lo, exec_lo, s14
	v_add_co_u32 v1, vcc_lo, v1, 16
	v_add_co_ci_u32_e64 v2, null, 0, v2, vcc_lo
	v_cmp_le_i64_e32 vcc_lo, s[6:7], v[1:2]
	s_or_b32 s12, vcc_lo, s12
	s_andn2_b32 exec_lo, exec_lo, s12
	s_cbranch_execz .LBB63_15
.LBB63_4:                               ; =>This Loop Header: Depth=1
                                        ;     Child Loop BB63_7 Depth 2
                                        ;       Child Loop BB63_10 Depth 3
	v_lshlrev_b64 v[3:4], 3, v[1:2]
	s_mov_b32 s14, exec_lo
	s_waitcnt lgkmcnt(0)
	v_add_co_u32 v3, vcc_lo, s0, v3
	v_add_co_ci_u32_e64 v4, null, s1, v4, vcc_lo
	global_load_dwordx2 v[3:4], v[3:4], off
	s_waitcnt vmcnt(0)
	v_sub_co_u32 v3, vcc_lo, v3, s16
	v_subrev_co_ci_u32_e64 v4, null, 0, v4, vcc_lo
	v_lshlrev_b64 v[3:4], 3, v[3:4]
	v_add_co_u32 v3, vcc_lo, s2, v3
	v_add_co_ci_u32_e64 v4, null, s3, v4, vcc_lo
	global_load_dwordx4 v[5:8], v[3:4], off
	s_waitcnt vmcnt(0)
	v_sub_co_u32 v3, vcc_lo, v7, s13
	v_subrev_co_ci_u32_e64 v4, null, 0, v8, vcc_lo
	v_add_co_u32 v5, vcc_lo, v5, v13
	v_add_co_ci_u32_e64 v6, null, v6, v14, vcc_lo
	v_cmpx_lt_i64_e64 v[5:6], v[3:4]
	s_cbranch_execz .LBB63_3
; %bb.5:                                ;   in Loop: Header=BB63_4 Depth=1
	s_mov_b32 s15, 0
	s_branch .LBB63_7
.LBB63_6:                               ;   in Loop: Header=BB63_7 Depth=2
	s_inst_prefetch 0x2
	s_or_b32 exec_lo, exec_lo, s17
	v_add_co_u32 v5, vcc_lo, v5, 64
	v_add_co_ci_u32_e64 v6, null, 0, v6, vcc_lo
	v_cmp_ge_i64_e32 vcc_lo, v[5:6], v[3:4]
	s_or_b32 s15, vcc_lo, s15
	s_andn2_b32 exec_lo, exec_lo, s15
	s_cbranch_execz .LBB63_3
.LBB63_7:                               ;   Parent Loop BB63_4 Depth=1
                                        ; =>  This Loop Header: Depth=2
                                        ;       Child Loop BB63_10 Depth 3
	v_lshlrev_b64 v[7:8], 3, v[5:6]
	s_mov_b32 s17, 0
                                        ; implicit-def: $sgpr20
	v_add_co_u32 v7, vcc_lo, s8, v7
	v_add_co_ci_u32_e64 v8, null, s9, v8, vcc_lo
	global_load_dwordx2 v[7:8], v[7:8], off
	s_waitcnt vmcnt(0)
	v_sub_co_u32 v7, vcc_lo, v7, s13
	v_subrev_co_ci_u32_e64 v8, null, 0, v8, vcc_lo
	v_mul_lo_u32 v9, 0x89, v7
	v_and_b32_e32 v15, 0x1fff, v9
	s_inst_prefetch 0x1
	s_branch .LBB63_10
	.p2align	6
.LBB63_8:                               ;   in Loop: Header=BB63_10 Depth=3
	s_or_b32 exec_lo, exec_lo, s22
	s_andn2_b32 s20, s20, exec_lo
	s_and_b32 s22, s23, exec_lo
	s_or_b32 s20, s20, s22
.LBB63_9:                               ;   in Loop: Header=BB63_10 Depth=3
	s_or_b32 exec_lo, exec_lo, s21
	s_xor_b32 s21, s20, -1
	s_and_b32 s21, exec_lo, s21
	s_or_b32 s17, s21, s17
	s_andn2_b32 exec_lo, exec_lo, s17
	s_cbranch_execz .LBB63_6
.LBB63_10:                              ;   Parent Loop BB63_4 Depth=1
                                        ;     Parent Loop BB63_7 Depth=2
                                        ; =>    This Inner Loop Header: Depth=3
	v_lshl_add_u32 v16, v15, 3, 0
	s_andn2_b32 s20, s20, exec_lo
	s_mov_b32 s21, exec_lo
	ds_read_b64 v[9:10], v16
	s_waitcnt lgkmcnt(0)
	v_cmpx_ne_u64_e64 v[9:10], v[7:8]
	s_cbranch_execz .LBB63_9
; %bb.11:                               ;   in Loop: Header=BB63_10 Depth=3
	s_mov_b32 s22, exec_lo
	v_cmpx_ne_u64_e64 s[24:25], v[9:10]
	s_xor_b32 s22, exec_lo, s22
; %bb.12:                               ;   in Loop: Header=BB63_10 Depth=3
	v_add_nc_u32_e32 v9, 1, v15
                                        ; implicit-def: $vgpr16
	v_and_b32_e32 v15, 0x1fff, v9
; %bb.13:                               ;   in Loop: Header=BB63_10 Depth=3
	s_or_saveexec_b32 s22, s22
	s_mov_b32 s23, -1
	s_xor_b32 exec_lo, exec_lo, s22
	s_cbranch_execz .LBB63_8
; %bb.14:                               ;   in Loop: Header=BB63_10 Depth=3
	v_mov_b32_e32 v9, s24
	v_mov_b32_e32 v10, s25
	ds_cmpst_rtn_b64 v[9:10], v16, v[9:10], v[7:8]
	s_waitcnt lgkmcnt(0)
	v_cmp_ne_u64_e32 vcc_lo, s[24:25], v[9:10]
	s_orn2_b32 s23, vcc_lo, exec_lo
	s_branch .LBB63_8
.LBB63_15:
	s_or_b32 exec_lo, exec_lo, s11
.LBB63_16:
	s_load_dwordx4 s[20:23], s[4:5], 0x48
	s_bfe_u32 s0, s10, 0x10008
	s_cmp_eq_u32 s0, 0
	s_cbranch_scc1 .LBB63_29
; %bb.17:
	s_load_dwordx2 s[0:1], s[4:5], 0x38
	s_waitcnt lgkmcnt(0)
	s_lshl_b64 s[2:3], s[26:27], 3
	v_sub_co_u32 v1, s6, v0, s19
	v_sub_co_ci_u32_e64 v2, null, 0, 0, s6
	s_mov_b32 s6, 0
	s_mov_b32 s7, exec_lo
	s_add_u32 s0, s0, s2
	s_addc_u32 s1, s1, s3
	s_load_dwordx4 s[0:3], s[0:1], 0x0
	s_waitcnt lgkmcnt(0)
	v_add_co_u32 v1, vcc_lo, s0, v1
	v_add_co_ci_u32_e64 v2, null, s1, v2, vcc_lo
	s_sub_u32 s0, s2, s19
	s_subb_u32 s1, s3, 0
	v_cmpx_gt_i64_e64 s[0:1], v[1:2]
	s_cbranch_execz .LBB63_28
; %bb.18:
	s_load_dwordx2 s[2:3], s[4:5], 0x40
	s_mov_b32 s8, s19
	s_branch .LBB63_20
.LBB63_19:                              ;   in Loop: Header=BB63_20 Depth=1
	s_inst_prefetch 0x2
	s_or_b32 exec_lo, exec_lo, s4
	v_add_co_u32 v1, vcc_lo, 0x400, v1
	v_add_co_ci_u32_e64 v2, null, 0, v2, vcc_lo
	v_cmp_le_i64_e32 vcc_lo, s[0:1], v[1:2]
	s_or_b32 s6, vcc_lo, s6
	s_andn2_b32 exec_lo, exec_lo, s6
	s_cbranch_execz .LBB63_28
.LBB63_20:                              ; =>This Loop Header: Depth=1
                                        ;     Child Loop BB63_23 Depth 2
	v_lshlrev_b64 v[3:4], 3, v[1:2]
	s_mov_b32 s4, 0
                                        ; implicit-def: $sgpr5
	s_waitcnt lgkmcnt(0)
	v_add_co_u32 v3, vcc_lo, s2, v3
	v_add_co_ci_u32_e64 v4, null, s3, v4, vcc_lo
	global_load_dwordx2 v[3:4], v[3:4], off
	s_waitcnt vmcnt(0)
	v_sub_co_u32 v3, vcc_lo, v3, s8
	v_subrev_co_ci_u32_e64 v4, null, 0, v4, vcc_lo
	v_mul_lo_u32 v5, 0x89, v3
	v_and_b32_e32 v7, 0x1fff, v5
	s_inst_prefetch 0x1
	s_branch .LBB63_23
	.p2align	6
.LBB63_21:                              ;   in Loop: Header=BB63_23 Depth=2
	s_or_b32 exec_lo, exec_lo, s10
	s_andn2_b32 s5, s5, exec_lo
	s_and_b32 s10, s11, exec_lo
	s_or_b32 s5, s5, s10
.LBB63_22:                              ;   in Loop: Header=BB63_23 Depth=2
	s_or_b32 exec_lo, exec_lo, s9
	s_xor_b32 s9, s5, -1
	s_and_b32 s9, exec_lo, s9
	s_or_b32 s4, s9, s4
	s_andn2_b32 exec_lo, exec_lo, s4
	s_cbranch_execz .LBB63_19
.LBB63_23:                              ;   Parent Loop BB63_20 Depth=1
                                        ; =>  This Inner Loop Header: Depth=2
	v_lshl_add_u32 v8, v7, 3, 0
	s_andn2_b32 s5, s5, exec_lo
	s_mov_b32 s9, exec_lo
	ds_read_b64 v[5:6], v8
	s_waitcnt lgkmcnt(0)
	v_cmpx_ne_u64_e64 v[5:6], v[3:4]
	s_cbranch_execz .LBB63_22
; %bb.24:                               ;   in Loop: Header=BB63_23 Depth=2
	s_mov_b32 s10, exec_lo
	v_cmpx_ne_u64_e64 s[24:25], v[5:6]
	s_xor_b32 s10, exec_lo, s10
; %bb.25:                               ;   in Loop: Header=BB63_23 Depth=2
	v_add_nc_u32_e32 v5, 1, v7
                                        ; implicit-def: $vgpr8
	v_and_b32_e32 v7, 0x1fff, v5
; %bb.26:                               ;   in Loop: Header=BB63_23 Depth=2
	s_or_saveexec_b32 s10, s10
	s_mov_b32 s11, -1
	s_xor_b32 exec_lo, exec_lo, s10
	s_cbranch_execz .LBB63_21
; %bb.27:                               ;   in Loop: Header=BB63_23 Depth=2
	v_mov_b32_e32 v5, s24
	v_mov_b32_e32 v6, s25
	ds_cmpst_rtn_b64 v[5:6], v8, v[5:6], v[3:4]
	s_waitcnt lgkmcnt(0)
	v_cmp_ne_u64_e32 vcc_lo, s[24:25], v[5:6]
	s_orn2_b32 s11, vcc_lo, exec_lo
	s_branch .LBB63_21
.LBB63_28:
	s_or_b32 exec_lo, exec_lo, s7
.LBB63_29:
	v_mbcnt_lo_u32_b32 v1, -1, 0
	v_lshlrev_b32_e32 v3, 3, v12
	s_add_i32 s39, 0, 0x10078
	v_mov_b32_e32 v2, 0
	v_cmp_lt_u32_e64 s0, 63, v0
	v_xor_b32_e32 v1, 31, v1
	v_add3_u32 v9, 0x10000, 0, v3
	v_mov_b32_e32 v3, 0
	v_cmp_lt_u32_e64 s1, 0x7f, v0
	v_cmp_lt_u32_e64 s2, 0xbf, v0
	v_lshrrev_b32_e64 v10, v1, -1
	v_cmp_lt_u32_e64 s3, 0xff, v0
	v_cmp_lt_u32_e64 s4, 0x13f, v0
	;; [unrolled: 1-line block ×12, first 2 shown]
	v_or_b32_e32 v12, 0xfffffc00, v0
	v_mov_b32_e32 v4, 0
	v_mov_b32_e32 v13, s39
	s_waitcnt lgkmcnt(0)
	s_mov_b32 s17, 0
	s_add_i32 s19, 0, 0x10000
	s_add_i32 s28, 0, 0x10008
	;; [unrolled: 1-line block ×15, first 2 shown]
	s_barrier
	v_cmp_eq_u32_e32 vcc_lo, 0x3ff, v0
	buffer_gl0_inv
	s_branch .LBB63_31
.LBB63_30:                              ;   in Loop: Header=BB63_31 Depth=1
	s_or_b32 exec_lo, exec_lo, s15
	s_waitcnt lgkmcnt(0)
	s_barrier
	buffer_gl0_inv
	ds_read_b64 v[5:6], v13
	v_add_nc_u32_e32 v12, 0x400, v12
	v_add_nc_u32_e32 v11, 0x2000, v11
	v_cmp_lt_u32_e64 s15, 0x1bff, v12
	s_or_b32 s17, s15, s17
	s_waitcnt lgkmcnt(0)
	v_add_co_u32 v3, s16, v5, v3
	v_add_co_ci_u32_e64 v4, null, v6, v4, s16
	s_andn2_b32 exec_lo, exec_lo, s17
	s_cbranch_execz .LBB63_65
.LBB63_31:                              ; =>This Inner Loop Header: Depth=1
	ds_read_b64 v[5:6], v11
	s_waitcnt lgkmcnt(0)
	s_barrier
	buffer_gl0_inv
	v_cmp_gt_i64_e64 s15, s[24:25], v[5:6]
	v_and_b32_e32 v7, s15, v10
	s_bcnt1_i32_b32 s16, s15
	v_mov_b32_e32 v1, s16
	v_bcnt_u32_b32 v7, v7, 0
	ds_write_b64 v9, v[1:2]
	s_waitcnt lgkmcnt(0)
	s_barrier
	buffer_gl0_inv
	s_and_saveexec_b32 s16, s0
	s_cbranch_execnz .LBB63_48
; %bb.32:                               ;   in Loop: Header=BB63_31 Depth=1
	s_or_b32 exec_lo, exec_lo, s16
	s_and_saveexec_b32 s16, s1
	s_cbranch_execnz .LBB63_49
.LBB63_33:                              ;   in Loop: Header=BB63_31 Depth=1
	s_or_b32 exec_lo, exec_lo, s16
	s_and_saveexec_b32 s16, s2
	s_cbranch_execnz .LBB63_50
.LBB63_34:                              ;   in Loop: Header=BB63_31 Depth=1
	s_or_b32 exec_lo, exec_lo, s16
	s_and_saveexec_b32 s16, s3
	s_cbranch_execnz .LBB63_51
.LBB63_35:                              ;   in Loop: Header=BB63_31 Depth=1
	s_or_b32 exec_lo, exec_lo, s16
	s_and_saveexec_b32 s16, s4
	s_cbranch_execnz .LBB63_52
.LBB63_36:                              ;   in Loop: Header=BB63_31 Depth=1
	s_or_b32 exec_lo, exec_lo, s16
	s_and_saveexec_b32 s16, s5
	s_cbranch_execnz .LBB63_53
.LBB63_37:                              ;   in Loop: Header=BB63_31 Depth=1
	s_or_b32 exec_lo, exec_lo, s16
	s_and_saveexec_b32 s16, s6
	s_cbranch_execnz .LBB63_54
.LBB63_38:                              ;   in Loop: Header=BB63_31 Depth=1
	s_or_b32 exec_lo, exec_lo, s16
	s_and_saveexec_b32 s16, s7
	s_cbranch_execnz .LBB63_55
.LBB63_39:                              ;   in Loop: Header=BB63_31 Depth=1
	s_or_b32 exec_lo, exec_lo, s16
	s_and_saveexec_b32 s16, s8
	s_cbranch_execnz .LBB63_56
.LBB63_40:                              ;   in Loop: Header=BB63_31 Depth=1
	s_or_b32 exec_lo, exec_lo, s16
	s_and_saveexec_b32 s16, s9
	s_cbranch_execnz .LBB63_57
.LBB63_41:                              ;   in Loop: Header=BB63_31 Depth=1
	s_or_b32 exec_lo, exec_lo, s16
	s_and_saveexec_b32 s16, s10
	s_cbranch_execnz .LBB63_58
.LBB63_42:                              ;   in Loop: Header=BB63_31 Depth=1
	s_or_b32 exec_lo, exec_lo, s16
	s_and_saveexec_b32 s16, s11
	s_cbranch_execnz .LBB63_59
.LBB63_43:                              ;   in Loop: Header=BB63_31 Depth=1
	s_or_b32 exec_lo, exec_lo, s16
	s_and_saveexec_b32 s16, s12
	s_cbranch_execnz .LBB63_60
.LBB63_44:                              ;   in Loop: Header=BB63_31 Depth=1
	s_or_b32 exec_lo, exec_lo, s16
	s_and_saveexec_b32 s16, s13
	s_cbranch_execnz .LBB63_61
.LBB63_45:                              ;   in Loop: Header=BB63_31 Depth=1
	s_or_b32 exec_lo, exec_lo, s16
	s_and_saveexec_b32 s16, s14
	s_cbranch_execnz .LBB63_62
.LBB63_46:                              ;   in Loop: Header=BB63_31 Depth=1
	s_or_b32 exec_lo, exec_lo, s16
	v_ashrrev_i32_e32 v8, 31, v7
	s_and_saveexec_b32 s16, s15
	s_cbranch_execnz .LBB63_63
.LBB63_47:                              ;   in Loop: Header=BB63_31 Depth=1
	s_or_b32 exec_lo, exec_lo, s16
	s_and_saveexec_b32 s15, vcc_lo
	s_cbranch_execz .LBB63_30
	s_branch .LBB63_64
.LBB63_48:                              ;   in Loop: Header=BB63_31 Depth=1
	v_mov_b32_e32 v1, s19
	ds_read_b32 v1, v1
	s_waitcnt lgkmcnt(0)
	v_add_nc_u32_e32 v7, v1, v7
	s_or_b32 exec_lo, exec_lo, s16
	s_and_saveexec_b32 s16, s1
	s_cbranch_execz .LBB63_33
.LBB63_49:                              ;   in Loop: Header=BB63_31 Depth=1
	v_mov_b32_e32 v1, s28
	ds_read_b32 v1, v1
	s_waitcnt lgkmcnt(0)
	v_add_nc_u32_e32 v7, v7, v1
	s_or_b32 exec_lo, exec_lo, s16
	s_and_saveexec_b32 s16, s2
	s_cbranch_execz .LBB63_34
.LBB63_50:                              ;   in Loop: Header=BB63_31 Depth=1
	v_mov_b32_e32 v1, s29
	ds_read_b32 v1, v1
	s_waitcnt lgkmcnt(0)
	v_add_nc_u32_e32 v7, v7, v1
	s_or_b32 exec_lo, exec_lo, s16
	s_and_saveexec_b32 s16, s3
	s_cbranch_execz .LBB63_35
.LBB63_51:                              ;   in Loop: Header=BB63_31 Depth=1
	v_mov_b32_e32 v1, s30
	ds_read_b32 v1, v1
	s_waitcnt lgkmcnt(0)
	v_add_nc_u32_e32 v7, v7, v1
	s_or_b32 exec_lo, exec_lo, s16
	s_and_saveexec_b32 s16, s4
	s_cbranch_execz .LBB63_36
.LBB63_52:                              ;   in Loop: Header=BB63_31 Depth=1
	v_mov_b32_e32 v1, s31
	ds_read_b32 v1, v1
	s_waitcnt lgkmcnt(0)
	v_add_nc_u32_e32 v7, v7, v1
	s_or_b32 exec_lo, exec_lo, s16
	s_and_saveexec_b32 s16, s5
	s_cbranch_execz .LBB63_37
.LBB63_53:                              ;   in Loop: Header=BB63_31 Depth=1
	v_mov_b32_e32 v1, s33
	ds_read_b32 v1, v1
	s_waitcnt lgkmcnt(0)
	v_add_nc_u32_e32 v7, v7, v1
	s_or_b32 exec_lo, exec_lo, s16
	s_and_saveexec_b32 s16, s6
	s_cbranch_execz .LBB63_38
.LBB63_54:                              ;   in Loop: Header=BB63_31 Depth=1
	v_mov_b32_e32 v1, s34
	ds_read_b32 v1, v1
	s_waitcnt lgkmcnt(0)
	v_add_nc_u32_e32 v7, v7, v1
	s_or_b32 exec_lo, exec_lo, s16
	s_and_saveexec_b32 s16, s7
	s_cbranch_execz .LBB63_39
.LBB63_55:                              ;   in Loop: Header=BB63_31 Depth=1
	v_mov_b32_e32 v1, s35
	ds_read_b32 v1, v1
	s_waitcnt lgkmcnt(0)
	v_add_nc_u32_e32 v7, v7, v1
	s_or_b32 exec_lo, exec_lo, s16
	s_and_saveexec_b32 s16, s8
	s_cbranch_execz .LBB63_40
.LBB63_56:                              ;   in Loop: Header=BB63_31 Depth=1
	v_mov_b32_e32 v1, s36
	ds_read_b32 v1, v1
	s_waitcnt lgkmcnt(0)
	v_add_nc_u32_e32 v7, v7, v1
	s_or_b32 exec_lo, exec_lo, s16
	s_and_saveexec_b32 s16, s9
	s_cbranch_execz .LBB63_41
.LBB63_57:                              ;   in Loop: Header=BB63_31 Depth=1
	v_mov_b32_e32 v1, s37
	ds_read_b32 v1, v1
	s_waitcnt lgkmcnt(0)
	v_add_nc_u32_e32 v7, v7, v1
	s_or_b32 exec_lo, exec_lo, s16
	s_and_saveexec_b32 s16, s10
	s_cbranch_execz .LBB63_42
.LBB63_58:                              ;   in Loop: Header=BB63_31 Depth=1
	v_mov_b32_e32 v1, s38
	ds_read_b32 v1, v1
	s_waitcnt lgkmcnt(0)
	v_add_nc_u32_e32 v7, v7, v1
	s_or_b32 exec_lo, exec_lo, s16
	s_and_saveexec_b32 s16, s11
	s_cbranch_execz .LBB63_43
.LBB63_59:                              ;   in Loop: Header=BB63_31 Depth=1
	v_mov_b32_e32 v1, s40
	ds_read_b32 v1, v1
	s_waitcnt lgkmcnt(0)
	v_add_nc_u32_e32 v7, v7, v1
	s_or_b32 exec_lo, exec_lo, s16
	s_and_saveexec_b32 s16, s12
	s_cbranch_execz .LBB63_44
.LBB63_60:                              ;   in Loop: Header=BB63_31 Depth=1
	v_mov_b32_e32 v1, s41
	ds_read_b32 v1, v1
	s_waitcnt lgkmcnt(0)
	v_add_nc_u32_e32 v7, v7, v1
	s_or_b32 exec_lo, exec_lo, s16
	s_and_saveexec_b32 s16, s13
	s_cbranch_execz .LBB63_45
.LBB63_61:                              ;   in Loop: Header=BB63_31 Depth=1
	v_mov_b32_e32 v1, s42
	ds_read_b32 v1, v1
	s_waitcnt lgkmcnt(0)
	v_add_nc_u32_e32 v7, v7, v1
	s_or_b32 exec_lo, exec_lo, s16
	s_and_saveexec_b32 s16, s14
	s_cbranch_execz .LBB63_46
.LBB63_62:                              ;   in Loop: Header=BB63_31 Depth=1
	v_mov_b32_e32 v1, s43
	ds_read_b32 v1, v1
	s_waitcnt lgkmcnt(0)
	v_add_nc_u32_e32 v7, v7, v1
	s_or_b32 exec_lo, exec_lo, s16
	v_ashrrev_i32_e32 v8, 31, v7
	s_and_saveexec_b32 s16, s15
	s_cbranch_execz .LBB63_47
.LBB63_63:                              ;   in Loop: Header=BB63_31 Depth=1
	v_lshlrev_b32_e32 v1, 3, v3
	v_lshlrev_b32_e32 v14, 3, v7
	v_add_nc_u32_e32 v1, 0, v1
	v_add3_u32 v1, v1, v14, -8
	ds_write_b64 v1, v[5:6]
	s_or_b32 exec_lo, exec_lo, s16
	s_and_saveexec_b32 s15, vcc_lo
	s_cbranch_execz .LBB63_30
.LBB63_64:                              ;   in Loop: Header=BB63_31 Depth=1
	v_mov_b32_e32 v1, s39
	ds_write_b64 v1, v[7:8]
	s_branch .LBB63_30
.LBB63_65:
	s_or_b32 exec_lo, exec_lo, s17
	s_lshl_b64 s[0:1], s[26:27], 3
	v_mov_b32_e32 v1, 0
	s_add_u32 s0, s20, s0
	s_addc_u32 s1, s21, s1
	s_mov_b32 s6, exec_lo
	s_load_dwordx4 s[0:3], s[0:1], 0x0
	s_waitcnt lgkmcnt(0)
	s_sub_u32 s4, s2, s0
	s_subb_u32 s5, s3, s1
	v_cmpx_gt_i64_e64 s[4:5], v[0:1]
	s_cbranch_execz .LBB63_75
; %bb.66:
	s_sub_u32 s8, s0, s18
	s_subb_u32 s9, s1, 0
	s_and_b32 s6, s4, 7
	s_sub_u32 s0, s0, s2
	s_subb_u32 s1, s1, s3
	s_mov_b32 s7, 0
	v_cmp_lt_u64_e64 s12, s[0:1], -7
	s_and_b32 s2, s4, -8
	s_cmp_lg_u64 s[6:7], 0
	s_mov_b32 s3, s5
	s_cselect_b32 s13, -1, 0
	s_mov_b32 s14, s7
	s_branch .LBB63_68
.LBB63_67:                              ;   in Loop: Header=BB63_68 Depth=1
	v_add_co_u32 v0, vcc_lo, 0x400, v0
	v_lshlrev_b64 v[4:5], 3, v[4:5]
	v_add_co_ci_u32_e64 v1, null, 0, v1, vcc_lo
	s_waitcnt lgkmcnt(0)
	v_add_co_u32 v2, vcc_lo, v2, s18
	v_add_co_ci_u32_e64 v3, null, 0, v3, vcc_lo
	v_cmp_le_i64_e32 vcc_lo, s[4:5], v[0:1]
	v_add_co_u32 v4, s0, s22, v4
	v_add_co_ci_u32_e64 v5, null, s23, v5, s0
	s_or_b32 s14, vcc_lo, s14
	global_store_dwordx2 v[4:5], v[2:3], off
	s_andn2_b32 exec_lo, exec_lo, s14
	s_cbranch_execz .LBB63_75
.LBB63_68:                              ; =>This Loop Header: Depth=1
                                        ;     Child Loop BB63_70 Depth 2
                                        ;     Child Loop BB63_74 Depth 2
	v_lshl_add_u32 v2, v0, 3, 0
	v_mov_b32_e32 v4, s8
	v_mov_b32_e32 v5, s9
	s_andn2_b32 vcc_lo, exec_lo, s12
	s_mov_b64 s[0:1], 0
	ds_read_b64 v[2:3], v2
	s_cbranch_vccnz .LBB63_72
; %bb.69:                               ;   in Loop: Header=BB63_68 Depth=1
	v_mov_b32_e32 v4, s8
	v_mov_b32_e32 v5, s9
	s_mov_b64 s[10:11], 0
	s_mov_b32 s1, 0
.LBB63_70:                              ;   Parent Loop BB63_68 Depth=1
                                        ; =>  This Inner Loop Header: Depth=2
	v_mov_b32_e32 v18, s1
	s_add_u32 s10, s10, 8
	s_addc_u32 s11, s11, 0
	s_add_i32 s1, s1, 64
	s_cmp_eq_u64 s[2:3], s[10:11]
	ds_read2_b64 v[6:9], v18 offset1:1
	ds_read2_b64 v[10:13], v18 offset0:2 offset1:3
	ds_read2_b64 v[14:17], v18 offset0:4 offset1:5
	;; [unrolled: 1-line block ×3, first 2 shown]
	s_waitcnt lgkmcnt(3)
	v_cmp_gt_i64_e32 vcc_lo, v[2:3], v[6:7]
	v_cndmask_b32_e64 v6, 0, 1, vcc_lo
	v_cmp_gt_i64_e32 vcc_lo, v[2:3], v[8:9]
	v_cndmask_b32_e64 v7, 0, 1, vcc_lo
	s_waitcnt lgkmcnt(2)
	v_cmp_gt_i64_e32 vcc_lo, v[2:3], v[10:11]
	v_cndmask_b32_e64 v8, 0, 1, vcc_lo
	v_cmp_gt_i64_e32 vcc_lo, v[2:3], v[12:13]
	v_cndmask_b32_e64 v9, 0, 1, vcc_lo
	s_waitcnt lgkmcnt(1)
	v_cmp_gt_i64_e32 vcc_lo, v[2:3], v[14:15]
	v_cndmask_b32_e64 v10, 0, 1, vcc_lo
	v_add_co_u32 v4, vcc_lo, v4, v6
	v_add_co_ci_u32_e64 v5, null, 0, v5, vcc_lo
	v_cmp_gt_i64_e32 vcc_lo, v[2:3], v[16:17]
	v_add_co_u32 v4, s0, v4, v7
	v_add_co_ci_u32_e64 v5, null, 0, v5, s0
	v_cndmask_b32_e64 v6, 0, 1, vcc_lo
	v_add_co_u32 v4, vcc_lo, v4, v8
	v_add_co_ci_u32_e64 v5, null, 0, v5, vcc_lo
	s_waitcnt lgkmcnt(0)
	v_cmp_gt_i64_e32 vcc_lo, v[2:3], v[18:19]
	v_add_co_u32 v4, s0, v4, v9
	v_add_co_ci_u32_e64 v5, null, 0, v5, s0
	v_cndmask_b32_e64 v7, 0, 1, vcc_lo
	v_add_co_u32 v4, vcc_lo, v4, v10
	v_add_co_ci_u32_e64 v5, null, 0, v5, vcc_lo
	v_cmp_gt_i64_e32 vcc_lo, v[2:3], v[20:21]
	v_add_co_u32 v4, s0, v4, v6
	v_add_co_ci_u32_e64 v5, null, 0, v5, s0
	v_cndmask_b32_e64 v6, 0, 1, vcc_lo
	v_add_co_u32 v4, vcc_lo, v4, v7
	v_add_co_ci_u32_e64 v5, null, 0, v5, vcc_lo
	v_add_co_u32 v4, vcc_lo, v4, v6
	v_add_co_ci_u32_e64 v5, null, 0, v5, vcc_lo
	s_cbranch_scc0 .LBB63_70
; %bb.71:                               ;   in Loop: Header=BB63_68 Depth=1
	s_mov_b64 s[0:1], s[2:3]
.LBB63_72:                              ;   in Loop: Header=BB63_68 Depth=1
	s_andn2_b32 vcc_lo, exec_lo, s13
	s_cbranch_vccnz .LBB63_67
; %bb.73:                               ;   in Loop: Header=BB63_68 Depth=1
	s_lshl_b32 s0, s0, 3
	s_add_i32 s10, s0, 0
	s_mov_b64 s[0:1], s[6:7]
.LBB63_74:                              ;   Parent Loop BB63_68 Depth=1
                                        ; =>  This Inner Loop Header: Depth=2
	v_mov_b32_e32 v6, s10
	s_add_i32 s10, s10, 8
	s_add_u32 s0, s0, -1
	s_addc_u32 s1, s1, -1
	s_cmp_lg_u64 s[0:1], 0
	ds_read_b64 v[6:7], v6
	s_waitcnt lgkmcnt(0)
	v_cmp_gt_i64_e32 vcc_lo, v[2:3], v[6:7]
	v_cndmask_b32_e64 v6, 0, 1, vcc_lo
	v_add_co_u32 v4, vcc_lo, v4, v6
	v_add_co_ci_u32_e64 v5, null, 0, v5, vcc_lo
	s_cbranch_scc1 .LBB63_74
	s_branch .LBB63_67
.LBB63_75:
	s_endpgm
	.section	.rodata,"a",@progbits
	.p2align	6, 0x0
	.amdhsa_kernel _ZN9rocsparseL35csrgemm_symbolic_fill_block_per_rowILj1024ELj64ELj8192ELj137ELj64EllEEvT5_PKS1_S3_PKT4_S3_S6_S3_S6_S3_S6_PS1_21rocsparse_index_base_S8_S8_S8_bb
		.amdhsa_group_segment_fixed_size 0
		.amdhsa_private_segment_fixed_size 0
		.amdhsa_kernarg_size 108
		.amdhsa_user_sgpr_count 6
		.amdhsa_user_sgpr_private_segment_buffer 1
		.amdhsa_user_sgpr_dispatch_ptr 0
		.amdhsa_user_sgpr_queue_ptr 0
		.amdhsa_user_sgpr_kernarg_segment_ptr 1
		.amdhsa_user_sgpr_dispatch_id 0
		.amdhsa_user_sgpr_flat_scratch_init 0
		.amdhsa_user_sgpr_private_segment_size 0
		.amdhsa_wavefront_size32 1
		.amdhsa_uses_dynamic_stack 0
		.amdhsa_system_sgpr_private_segment_wavefront_offset 0
		.amdhsa_system_sgpr_workgroup_id_x 1
		.amdhsa_system_sgpr_workgroup_id_y 0
		.amdhsa_system_sgpr_workgroup_id_z 0
		.amdhsa_system_sgpr_workgroup_info 0
		.amdhsa_system_vgpr_workitem_id 0
		.amdhsa_next_free_vgpr 22
		.amdhsa_next_free_sgpr 44
		.amdhsa_reserve_vcc 1
		.amdhsa_reserve_flat_scratch 0
		.amdhsa_float_round_mode_32 0
		.amdhsa_float_round_mode_16_64 0
		.amdhsa_float_denorm_mode_32 3
		.amdhsa_float_denorm_mode_16_64 3
		.amdhsa_dx10_clamp 1
		.amdhsa_ieee_mode 1
		.amdhsa_fp16_overflow 0
		.amdhsa_workgroup_processor_mode 1
		.amdhsa_memory_ordered 1
		.amdhsa_forward_progress 1
		.amdhsa_shared_vgpr_count 0
		.amdhsa_exception_fp_ieee_invalid_op 0
		.amdhsa_exception_fp_denorm_src 0
		.amdhsa_exception_fp_ieee_div_zero 0
		.amdhsa_exception_fp_ieee_overflow 0
		.amdhsa_exception_fp_ieee_underflow 0
		.amdhsa_exception_fp_ieee_inexact 0
		.amdhsa_exception_int_div_zero 0
	.end_amdhsa_kernel
	.section	.text._ZN9rocsparseL35csrgemm_symbolic_fill_block_per_rowILj1024ELj64ELj8192ELj137ELj64EllEEvT5_PKS1_S3_PKT4_S3_S6_S3_S6_S3_S6_PS1_21rocsparse_index_base_S8_S8_S8_bb,"axG",@progbits,_ZN9rocsparseL35csrgemm_symbolic_fill_block_per_rowILj1024ELj64ELj8192ELj137ELj64EllEEvT5_PKS1_S3_PKT4_S3_S6_S3_S6_S3_S6_PS1_21rocsparse_index_base_S8_S8_S8_bb,comdat
.Lfunc_end63:
	.size	_ZN9rocsparseL35csrgemm_symbolic_fill_block_per_rowILj1024ELj64ELj8192ELj137ELj64EllEEvT5_PKS1_S3_PKT4_S3_S6_S3_S6_S3_S6_PS1_21rocsparse_index_base_S8_S8_S8_bb, .Lfunc_end63-_ZN9rocsparseL35csrgemm_symbolic_fill_block_per_rowILj1024ELj64ELj8192ELj137ELj64EllEEvT5_PKS1_S3_PKT4_S3_S6_S3_S6_S3_S6_PS1_21rocsparse_index_base_S8_S8_S8_bb
                                        ; -- End function
	.set _ZN9rocsparseL35csrgemm_symbolic_fill_block_per_rowILj1024ELj64ELj8192ELj137ELj64EllEEvT5_PKS1_S3_PKT4_S3_S6_S3_S6_S3_S6_PS1_21rocsparse_index_base_S8_S8_S8_bb.num_vgpr, 22
	.set _ZN9rocsparseL35csrgemm_symbolic_fill_block_per_rowILj1024ELj64ELj8192ELj137ELj64EllEEvT5_PKS1_S3_PKT4_S3_S6_S3_S6_S3_S6_PS1_21rocsparse_index_base_S8_S8_S8_bb.num_agpr, 0
	.set _ZN9rocsparseL35csrgemm_symbolic_fill_block_per_rowILj1024ELj64ELj8192ELj137ELj64EllEEvT5_PKS1_S3_PKT4_S3_S6_S3_S6_S3_S6_PS1_21rocsparse_index_base_S8_S8_S8_bb.numbered_sgpr, 44
	.set _ZN9rocsparseL35csrgemm_symbolic_fill_block_per_rowILj1024ELj64ELj8192ELj137ELj64EllEEvT5_PKS1_S3_PKT4_S3_S6_S3_S6_S3_S6_PS1_21rocsparse_index_base_S8_S8_S8_bb.num_named_barrier, 0
	.set _ZN9rocsparseL35csrgemm_symbolic_fill_block_per_rowILj1024ELj64ELj8192ELj137ELj64EllEEvT5_PKS1_S3_PKT4_S3_S6_S3_S6_S3_S6_PS1_21rocsparse_index_base_S8_S8_S8_bb.private_seg_size, 0
	.set _ZN9rocsparseL35csrgemm_symbolic_fill_block_per_rowILj1024ELj64ELj8192ELj137ELj64EllEEvT5_PKS1_S3_PKT4_S3_S6_S3_S6_S3_S6_PS1_21rocsparse_index_base_S8_S8_S8_bb.uses_vcc, 1
	.set _ZN9rocsparseL35csrgemm_symbolic_fill_block_per_rowILj1024ELj64ELj8192ELj137ELj64EllEEvT5_PKS1_S3_PKT4_S3_S6_S3_S6_S3_S6_PS1_21rocsparse_index_base_S8_S8_S8_bb.uses_flat_scratch, 0
	.set _ZN9rocsparseL35csrgemm_symbolic_fill_block_per_rowILj1024ELj64ELj8192ELj137ELj64EllEEvT5_PKS1_S3_PKT4_S3_S6_S3_S6_S3_S6_PS1_21rocsparse_index_base_S8_S8_S8_bb.has_dyn_sized_stack, 0
	.set _ZN9rocsparseL35csrgemm_symbolic_fill_block_per_rowILj1024ELj64ELj8192ELj137ELj64EllEEvT5_PKS1_S3_PKT4_S3_S6_S3_S6_S3_S6_PS1_21rocsparse_index_base_S8_S8_S8_bb.has_recursion, 0
	.set _ZN9rocsparseL35csrgemm_symbolic_fill_block_per_rowILj1024ELj64ELj8192ELj137ELj64EllEEvT5_PKS1_S3_PKT4_S3_S6_S3_S6_S3_S6_PS1_21rocsparse_index_base_S8_S8_S8_bb.has_indirect_call, 0
	.section	.AMDGPU.csdata,"",@progbits
; Kernel info:
; codeLenInByte = 3264
; TotalNumSgprs: 46
; NumVgprs: 22
; ScratchSize: 0
; MemoryBound: 0
; FloatMode: 240
; IeeeMode: 1
; LDSByteSize: 0 bytes/workgroup (compile time only)
; SGPRBlocks: 0
; VGPRBlocks: 2
; NumSGPRsForWavesPerEU: 46
; NumVGPRsForWavesPerEU: 22
; Occupancy: 16
; WaveLimiterHint : 1
; COMPUTE_PGM_RSRC2:SCRATCH_EN: 0
; COMPUTE_PGM_RSRC2:USER_SGPR: 6
; COMPUTE_PGM_RSRC2:TRAP_HANDLER: 0
; COMPUTE_PGM_RSRC2:TGID_X_EN: 1
; COMPUTE_PGM_RSRC2:TGID_Y_EN: 0
; COMPUTE_PGM_RSRC2:TGID_Z_EN: 0
; COMPUTE_PGM_RSRC2:TIDIG_COMP_CNT: 0
	.section	.text._ZN9rocsparseL35csrgemm_symbolic_fill_block_per_rowILj1024ELj64ELj16384ELj137ELj32EllEEvT5_PKS1_S3_PKT4_S3_S6_S3_S6_S3_S6_PS1_21rocsparse_index_base_S8_S8_S8_bb,"axG",@progbits,_ZN9rocsparseL35csrgemm_symbolic_fill_block_per_rowILj1024ELj64ELj16384ELj137ELj32EllEEvT5_PKS1_S3_PKT4_S3_S6_S3_S6_S3_S6_PS1_21rocsparse_index_base_S8_S8_S8_bb,comdat
	.globl	_ZN9rocsparseL35csrgemm_symbolic_fill_block_per_rowILj1024ELj64ELj16384ELj137ELj32EllEEvT5_PKS1_S3_PKT4_S3_S6_S3_S6_S3_S6_PS1_21rocsparse_index_base_S8_S8_S8_bb ; -- Begin function _ZN9rocsparseL35csrgemm_symbolic_fill_block_per_rowILj1024ELj64ELj16384ELj137ELj32EllEEvT5_PKS1_S3_PKT4_S3_S6_S3_S6_S3_S6_PS1_21rocsparse_index_base_S8_S8_S8_bb
	.p2align	8
	.type	_ZN9rocsparseL35csrgemm_symbolic_fill_block_per_rowILj1024ELj64ELj16384ELj137ELj32EllEEvT5_PKS1_S3_PKT4_S3_S6_S3_S6_S3_S6_PS1_21rocsparse_index_base_S8_S8_S8_bb,@function
_ZN9rocsparseL35csrgemm_symbolic_fill_block_per_rowILj1024ELj64ELj16384ELj137ELj32EllEEvT5_PKS1_S3_PKT4_S3_S6_S3_S6_S3_S6_PS1_21rocsparse_index_base_S8_S8_S8_bb: ; @_ZN9rocsparseL35csrgemm_symbolic_fill_block_per_rowILj1024ELj64ELj16384ELj137ELj32EllEEvT5_PKS1_S3_PKT4_S3_S6_S3_S6_S3_S6_PS1_21rocsparse_index_base_S8_S8_S8_bb
; %bb.0:
	s_clause 0x3
	s_load_dwordx8 s[36:43], s[4:5], 0x0
	s_load_dwordx2 s[34:35], s[4:5], 0x50
	s_load_dwordx4 s[48:51], s[4:5], 0x40
	s_load_dwordx8 s[8:15], s[4:5], 0x20
	v_lshl_add_u32 v11, v0, 3, 0
	v_or_b32_e32 v12, 0xfffffc00, v0
	s_mov_b32 s0, 0
	v_mov_b32_e32 v3, v11
	v_mov_b32_e32 v4, v12
	s_waitcnt lgkmcnt(0)
	v_mov_b32_e32 v1, s36
	v_mov_b32_e32 v2, s37
.LBB64_1:                               ; =>This Inner Loop Header: Depth=1
	v_add_nc_u32_e32 v4, 0x400, v4
	ds_write_b64 v3, v[1:2]
	v_add_nc_u32_e32 v3, 0x2000, v3
	v_cmp_lt_u32_e32 vcc_lo, 0x3bff, v4
	s_or_b32 s0, vcc_lo, s0
	s_andn2_b32 exec_lo, exec_lo, s0
	s_cbranch_execnz .LBB64_1
; %bb.2:
	s_or_b32 exec_lo, exec_lo, s0
	s_load_dword s2, s[4:5], 0x68
	s_waitcnt lgkmcnt(0)
	s_barrier
	buffer_gl0_inv
	s_load_dwordx2 s[0:1], s[38:39], 0x0
	s_mov_b32 s7, 0
	s_bitcmp1_b32 s2, 0
	s_cselect_b32 s3, -1, 0
	s_waitcnt lgkmcnt(0)
	s_lshl_b64 s[0:1], s[0:1], 3
	s_add_u32 s16, s40, s0
	s_addc_u32 s17, s41, s1
	s_lshl_b64 s[0:1], s[6:7], 3
	s_add_u32 s0, s16, s0
	s_addc_u32 s1, s17, s1
	s_load_dwordx4 s[44:47], s[4:5], 0x58
	s_load_dwordx2 s[38:39], s[0:1], 0x0
	s_and_b32 vcc_lo, exec_lo, s3
	s_cbranch_vccz .LBB64_18
; %bb.3:
	s_waitcnt lgkmcnt(0)
	s_lshl_b64 s[0:1], s[38:39], 3
	v_lshrrev_b32_e32 v1, 6, v0
	s_add_u32 s0, s42, s0
	s_addc_u32 s1, s43, s1
	s_mov_b32 s3, exec_lo
	s_load_dwordx4 s[4:7], s[0:1], 0x0
	v_sub_co_u32 v1, s0, v1, s44
	v_sub_co_ci_u32_e64 v2, null, 0, 0, s0
	s_waitcnt lgkmcnt(0)
	v_add_co_u32 v1, vcc_lo, s4, v1
	v_add_co_ci_u32_e64 v2, null, s5, v2, vcc_lo
	s_sub_u32 s0, s6, s44
	s_subb_u32 s1, s7, 0
	v_cmpx_gt_i64_e64 s[0:1], v[1:2]
	s_cbranch_execz .LBB64_17
; %bb.4:
	v_and_b32_e32 v3, 63, v0
	s_mov_b32 s5, s45
	v_sub_co_u32 v13, s4, v3, s45
	v_sub_co_ci_u32_e64 v14, null, 0, 0, s4
	s_mov_b32 s4, 0
	s_branch .LBB64_6
.LBB64_5:                               ;   in Loop: Header=BB64_6 Depth=1
	s_or_b32 exec_lo, exec_lo, s6
	v_add_co_u32 v1, vcc_lo, v1, 16
	v_add_co_ci_u32_e64 v2, null, 0, v2, vcc_lo
	v_cmp_le_i64_e32 vcc_lo, s[0:1], v[1:2]
	s_or_b32 s4, vcc_lo, s4
	s_andn2_b32 exec_lo, exec_lo, s4
	s_cbranch_execz .LBB64_17
.LBB64_6:                               ; =>This Loop Header: Depth=1
                                        ;     Child Loop BB64_9 Depth 2
                                        ;       Child Loop BB64_12 Depth 3
	v_lshlrev_b64 v[3:4], 3, v[1:2]
	s_mov_b32 s6, exec_lo
	v_add_co_u32 v3, vcc_lo, s8, v3
	v_add_co_ci_u32_e64 v4, null, s9, v4, vcc_lo
	global_load_dwordx2 v[3:4], v[3:4], off
	s_waitcnt vmcnt(0)
	v_sub_co_u32 v3, vcc_lo, v3, s44
	v_subrev_co_ci_u32_e64 v4, null, 0, v4, vcc_lo
	v_lshlrev_b64 v[3:4], 3, v[3:4]
	v_add_co_u32 v3, vcc_lo, s10, v3
	v_add_co_ci_u32_e64 v4, null, s11, v4, vcc_lo
	global_load_dwordx4 v[5:8], v[3:4], off
	s_waitcnt vmcnt(0)
	v_sub_co_u32 v3, vcc_lo, v7, s5
	v_subrev_co_ci_u32_e64 v4, null, 0, v8, vcc_lo
	v_add_co_u32 v5, vcc_lo, v5, v13
	v_add_co_ci_u32_e64 v6, null, v6, v14, vcc_lo
	v_cmpx_lt_i64_e64 v[5:6], v[3:4]
	s_cbranch_execz .LBB64_5
; %bb.7:                                ;   in Loop: Header=BB64_6 Depth=1
	s_mov_b32 s7, 0
	s_branch .LBB64_9
.LBB64_8:                               ;   in Loop: Header=BB64_9 Depth=2
	s_inst_prefetch 0x2
	s_or_b32 exec_lo, exec_lo, s16
	v_add_co_u32 v5, vcc_lo, v5, 64
	v_add_co_ci_u32_e64 v6, null, 0, v6, vcc_lo
	v_cmp_ge_i64_e32 vcc_lo, v[5:6], v[3:4]
	s_or_b32 s7, vcc_lo, s7
	s_andn2_b32 exec_lo, exec_lo, s7
	s_cbranch_execz .LBB64_5
.LBB64_9:                               ;   Parent Loop BB64_6 Depth=1
                                        ; =>  This Loop Header: Depth=2
                                        ;       Child Loop BB64_12 Depth 3
	v_lshlrev_b64 v[7:8], 3, v[5:6]
	s_mov_b32 s16, 0
                                        ; implicit-def: $sgpr17
	v_add_co_u32 v7, vcc_lo, s12, v7
	v_add_co_ci_u32_e64 v8, null, s13, v8, vcc_lo
	global_load_dwordx2 v[7:8], v[7:8], off
	s_waitcnt vmcnt(0)
	v_sub_co_u32 v7, vcc_lo, v7, s5
	v_subrev_co_ci_u32_e64 v8, null, 0, v8, vcc_lo
	v_mul_lo_u32 v9, 0x89, v7
	v_and_b32_e32 v15, 0x3fff, v9
	s_inst_prefetch 0x1
	s_branch .LBB64_12
	.p2align	6
.LBB64_10:                              ;   in Loop: Header=BB64_12 Depth=3
	s_or_b32 exec_lo, exec_lo, s19
	s_andn2_b32 s17, s17, exec_lo
	s_and_b32 s19, s20, exec_lo
	s_or_b32 s17, s17, s19
.LBB64_11:                              ;   in Loop: Header=BB64_12 Depth=3
	s_or_b32 exec_lo, exec_lo, s18
	s_xor_b32 s18, s17, -1
	s_and_b32 s18, exec_lo, s18
	s_or_b32 s16, s18, s16
	s_andn2_b32 exec_lo, exec_lo, s16
	s_cbranch_execz .LBB64_8
.LBB64_12:                              ;   Parent Loop BB64_6 Depth=1
                                        ;     Parent Loop BB64_9 Depth=2
                                        ; =>    This Inner Loop Header: Depth=3
	v_lshl_add_u32 v16, v15, 3, 0
	s_andn2_b32 s17, s17, exec_lo
	s_mov_b32 s18, exec_lo
	ds_read_b64 v[9:10], v16
	s_waitcnt lgkmcnt(0)
	v_cmpx_ne_u64_e64 v[9:10], v[7:8]
	s_cbranch_execz .LBB64_11
; %bb.13:                               ;   in Loop: Header=BB64_12 Depth=3
	s_mov_b32 s19, exec_lo
	v_cmpx_ne_u64_e64 s[36:37], v[9:10]
	s_xor_b32 s19, exec_lo, s19
; %bb.14:                               ;   in Loop: Header=BB64_12 Depth=3
	v_add_nc_u32_e32 v9, 1, v15
                                        ; implicit-def: $vgpr16
	v_and_b32_e32 v15, 0x3fff, v9
; %bb.15:                               ;   in Loop: Header=BB64_12 Depth=3
	s_or_saveexec_b32 s19, s19
	s_mov_b32 s20, -1
	s_xor_b32 exec_lo, exec_lo, s19
	s_cbranch_execz .LBB64_10
; %bb.16:                               ;   in Loop: Header=BB64_12 Depth=3
	v_mov_b32_e32 v9, s36
	v_mov_b32_e32 v10, s37
	ds_cmpst_rtn_b64 v[9:10], v16, v[9:10], v[7:8]
	s_waitcnt lgkmcnt(0)
	v_cmp_ne_u64_e32 vcc_lo, s[36:37], v[9:10]
	s_orn2_b32 s20, vcc_lo, exec_lo
	s_branch .LBB64_10
.LBB64_17:
	s_or_b32 exec_lo, exec_lo, s3
.LBB64_18:
	s_bfe_u32 s0, s2, 0x10008
	s_cmp_eq_u32 s0, 0
	s_cbranch_scc1 .LBB64_31
; %bb.19:
	s_waitcnt lgkmcnt(0)
	s_lshl_b64 s[0:1], s[38:39], 3
	v_sub_co_u32 v1, s4, v0, s47
	s_add_u32 s0, s14, s0
	s_addc_u32 s1, s15, s1
	v_sub_co_ci_u32_e64 v2, null, 0, 0, s4
	s_load_dwordx4 s[0:3], s[0:1], 0x0
	s_waitcnt lgkmcnt(0)
	v_add_co_u32 v1, vcc_lo, s0, v1
	v_add_co_ci_u32_e64 v2, null, s1, v2, vcc_lo
	s_sub_u32 s0, s2, s47
	s_subb_u32 s1, s3, 0
	s_mov_b32 s2, 0
	s_mov_b32 s3, exec_lo
	v_cmpx_gt_i64_e64 s[0:1], v[1:2]
	s_cbranch_execz .LBB64_30
; %bb.20:
	s_mov_b32 s4, s47
	s_branch .LBB64_22
.LBB64_21:                              ;   in Loop: Header=BB64_22 Depth=1
	s_inst_prefetch 0x2
	s_or_b32 exec_lo, exec_lo, s5
	v_add_co_u32 v1, vcc_lo, 0x400, v1
	v_add_co_ci_u32_e64 v2, null, 0, v2, vcc_lo
	v_cmp_le_i64_e32 vcc_lo, s[0:1], v[1:2]
	s_or_b32 s2, vcc_lo, s2
	s_andn2_b32 exec_lo, exec_lo, s2
	s_cbranch_execz .LBB64_30
.LBB64_22:                              ; =>This Loop Header: Depth=1
                                        ;     Child Loop BB64_25 Depth 2
	v_lshlrev_b64 v[3:4], 3, v[1:2]
	s_mov_b32 s5, 0
                                        ; implicit-def: $sgpr6
	v_add_co_u32 v3, vcc_lo, s48, v3
	v_add_co_ci_u32_e64 v4, null, s49, v4, vcc_lo
	global_load_dwordx2 v[3:4], v[3:4], off
	s_waitcnt vmcnt(0)
	v_sub_co_u32 v3, vcc_lo, v3, s4
	v_subrev_co_ci_u32_e64 v4, null, 0, v4, vcc_lo
	v_mul_lo_u32 v5, 0x89, v3
	v_and_b32_e32 v7, 0x3fff, v5
	s_inst_prefetch 0x1
	s_branch .LBB64_25
	.p2align	6
.LBB64_23:                              ;   in Loop: Header=BB64_25 Depth=2
	s_or_b32 exec_lo, exec_lo, s8
	s_andn2_b32 s6, s6, exec_lo
	s_and_b32 s8, s9, exec_lo
	s_or_b32 s6, s6, s8
.LBB64_24:                              ;   in Loop: Header=BB64_25 Depth=2
	s_or_b32 exec_lo, exec_lo, s7
	s_xor_b32 s7, s6, -1
	s_and_b32 s7, exec_lo, s7
	s_or_b32 s5, s7, s5
	s_andn2_b32 exec_lo, exec_lo, s5
	s_cbranch_execz .LBB64_21
.LBB64_25:                              ;   Parent Loop BB64_22 Depth=1
                                        ; =>  This Inner Loop Header: Depth=2
	v_lshl_add_u32 v8, v7, 3, 0
	s_andn2_b32 s6, s6, exec_lo
	s_mov_b32 s7, exec_lo
	ds_read_b64 v[5:6], v8
	s_waitcnt lgkmcnt(0)
	v_cmpx_ne_u64_e64 v[5:6], v[3:4]
	s_cbranch_execz .LBB64_24
; %bb.26:                               ;   in Loop: Header=BB64_25 Depth=2
	s_mov_b32 s8, exec_lo
	v_cmpx_ne_u64_e64 s[36:37], v[5:6]
	s_xor_b32 s8, exec_lo, s8
; %bb.27:                               ;   in Loop: Header=BB64_25 Depth=2
	v_add_nc_u32_e32 v5, 1, v7
                                        ; implicit-def: $vgpr8
	v_and_b32_e32 v7, 0x3fff, v5
; %bb.28:                               ;   in Loop: Header=BB64_25 Depth=2
	s_or_saveexec_b32 s8, s8
	s_mov_b32 s9, -1
	s_xor_b32 exec_lo, exec_lo, s8
	s_cbranch_execz .LBB64_23
; %bb.29:                               ;   in Loop: Header=BB64_25 Depth=2
	v_mov_b32_e32 v5, s36
	v_mov_b32_e32 v6, s37
	ds_cmpst_rtn_b64 v[5:6], v8, v[5:6], v[3:4]
	s_waitcnt lgkmcnt(0)
	v_cmp_ne_u64_e32 vcc_lo, s[36:37], v[5:6]
	s_orn2_b32 s9, vcc_lo, exec_lo
	s_branch .LBB64_23
.LBB64_30:
	s_or_b32 exec_lo, exec_lo, s3
.LBB64_31:
	v_lshrrev_b32_e32 v2, 2, v0
	v_mbcnt_lo_u32_b32 v1, -1, 0
	v_cmp_lt_u32_e64 s0, 31, v0
	v_cmp_lt_u32_e64 s1, 63, v0
	;; [unrolled: 1-line block ×3, first 2 shown]
	v_and_b32_e32 v3, 0xf8, v2
	v_xor_b32_e32 v1, 31, v1
	v_mov_b32_e32 v2, 0
	v_cmp_lt_u32_e64 s3, 0x7f, v0
	v_cmp_lt_u32_e64 s4, 0x9f, v0
	v_add3_u32 v10, 0x20000, 0, v3
	v_mov_b32_e32 v3, 0
	v_lshrrev_b32_e64 v9, v1, -1
	v_cmp_lt_u32_e64 s5, 0xbf, v0
	v_cmp_lt_u32_e64 s6, 0xdf, v0
	;; [unrolled: 1-line block ×26, first 2 shown]
	v_mov_b32_e32 v4, 0
	s_mov_b32 s40, 0
	s_add_i32 s41, 0, 0x20000
	s_add_i32 s42, 0, 0x20008
	;; [unrolled: 1-line block ×3, first 2 shown]
	s_waitcnt lgkmcnt(0)
	s_add_i32 s44, 0, 0x20018
	s_add_i32 s45, 0, 0x20020
	;; [unrolled: 1-line block ×29, first 2 shown]
	s_barrier
	v_cmp_eq_u32_e32 vcc_lo, 0x3ff, v0
	buffer_gl0_inv
	s_branch .LBB64_33
.LBB64_32:                              ;   in Loop: Header=BB64_33 Depth=1
	s_or_b32 exec_lo, exec_lo, s31
	v_mov_b32_e32 v1, s75
	s_waitcnt lgkmcnt(0)
	s_barrier
	buffer_gl0_inv
	v_add_nc_u32_e32 v12, 0x400, v12
	ds_read_b64 v[5:6], v1
	v_add_nc_u32_e32 v11, 0x2000, v11
	v_cmp_lt_u32_e64 s31, 0x3bff, v12
	s_or_b32 s40, s31, s40
	s_waitcnt lgkmcnt(0)
	v_add_co_u32 v3, s33, v5, v3
	v_add_co_ci_u32_e64 v4, null, v6, v4, s33
	s_andn2_b32 exec_lo, exec_lo, s40
	s_cbranch_execz .LBB64_99
.LBB64_33:                              ; =>This Inner Loop Header: Depth=1
	ds_read_b64 v[5:6], v11
	s_waitcnt lgkmcnt(0)
	s_barrier
	buffer_gl0_inv
	v_cmp_gt_i64_e64 s31, s[36:37], v[5:6]
	v_and_b32_e32 v7, s31, v9
	s_bcnt1_i32_b32 s33, s31
	v_mov_b32_e32 v1, s33
	v_bcnt_u32_b32 v7, v7, 0
	ds_write_b64 v10, v[1:2]
	s_waitcnt lgkmcnt(0)
	s_barrier
	buffer_gl0_inv
	s_and_saveexec_b32 s33, s0
	s_cbranch_execnz .LBB64_66
; %bb.34:                               ;   in Loop: Header=BB64_33 Depth=1
	s_or_b32 exec_lo, exec_lo, s33
	s_and_saveexec_b32 s33, s1
	s_cbranch_execnz .LBB64_67
.LBB64_35:                              ;   in Loop: Header=BB64_33 Depth=1
	s_or_b32 exec_lo, exec_lo, s33
	s_and_saveexec_b32 s33, s2
	s_cbranch_execnz .LBB64_68
.LBB64_36:                              ;   in Loop: Header=BB64_33 Depth=1
	s_or_b32 exec_lo, exec_lo, s33
	s_and_saveexec_b32 s33, s3
	s_cbranch_execnz .LBB64_69
.LBB64_37:                              ;   in Loop: Header=BB64_33 Depth=1
	s_or_b32 exec_lo, exec_lo, s33
	s_and_saveexec_b32 s33, s4
	s_cbranch_execnz .LBB64_70
.LBB64_38:                              ;   in Loop: Header=BB64_33 Depth=1
	s_or_b32 exec_lo, exec_lo, s33
	s_and_saveexec_b32 s33, s5
	s_cbranch_execnz .LBB64_71
.LBB64_39:                              ;   in Loop: Header=BB64_33 Depth=1
	s_or_b32 exec_lo, exec_lo, s33
	s_and_saveexec_b32 s33, s6
	s_cbranch_execnz .LBB64_72
.LBB64_40:                              ;   in Loop: Header=BB64_33 Depth=1
	s_or_b32 exec_lo, exec_lo, s33
	s_and_saveexec_b32 s33, s7
	s_cbranch_execnz .LBB64_73
.LBB64_41:                              ;   in Loop: Header=BB64_33 Depth=1
	s_or_b32 exec_lo, exec_lo, s33
	s_and_saveexec_b32 s33, s8
	s_cbranch_execnz .LBB64_74
.LBB64_42:                              ;   in Loop: Header=BB64_33 Depth=1
	s_or_b32 exec_lo, exec_lo, s33
	s_and_saveexec_b32 s33, s9
	s_cbranch_execnz .LBB64_75
.LBB64_43:                              ;   in Loop: Header=BB64_33 Depth=1
	s_or_b32 exec_lo, exec_lo, s33
	s_and_saveexec_b32 s33, s10
	s_cbranch_execnz .LBB64_76
.LBB64_44:                              ;   in Loop: Header=BB64_33 Depth=1
	s_or_b32 exec_lo, exec_lo, s33
	s_and_saveexec_b32 s33, s11
	s_cbranch_execnz .LBB64_77
.LBB64_45:                              ;   in Loop: Header=BB64_33 Depth=1
	s_or_b32 exec_lo, exec_lo, s33
	s_and_saveexec_b32 s33, s12
	s_cbranch_execnz .LBB64_78
.LBB64_46:                              ;   in Loop: Header=BB64_33 Depth=1
	s_or_b32 exec_lo, exec_lo, s33
	s_and_saveexec_b32 s33, s13
	s_cbranch_execnz .LBB64_79
.LBB64_47:                              ;   in Loop: Header=BB64_33 Depth=1
	s_or_b32 exec_lo, exec_lo, s33
	s_and_saveexec_b32 s33, s14
	s_cbranch_execnz .LBB64_80
.LBB64_48:                              ;   in Loop: Header=BB64_33 Depth=1
	s_or_b32 exec_lo, exec_lo, s33
	s_and_saveexec_b32 s33, s15
	s_cbranch_execnz .LBB64_81
.LBB64_49:                              ;   in Loop: Header=BB64_33 Depth=1
	s_or_b32 exec_lo, exec_lo, s33
	s_and_saveexec_b32 s33, s16
	s_cbranch_execnz .LBB64_82
.LBB64_50:                              ;   in Loop: Header=BB64_33 Depth=1
	s_or_b32 exec_lo, exec_lo, s33
	s_and_saveexec_b32 s33, s17
	s_cbranch_execnz .LBB64_83
.LBB64_51:                              ;   in Loop: Header=BB64_33 Depth=1
	s_or_b32 exec_lo, exec_lo, s33
	s_and_saveexec_b32 s33, s18
	s_cbranch_execnz .LBB64_84
.LBB64_52:                              ;   in Loop: Header=BB64_33 Depth=1
	s_or_b32 exec_lo, exec_lo, s33
	s_and_saveexec_b32 s33, s19
	s_cbranch_execnz .LBB64_85
.LBB64_53:                              ;   in Loop: Header=BB64_33 Depth=1
	s_or_b32 exec_lo, exec_lo, s33
	s_and_saveexec_b32 s33, s20
	s_cbranch_execnz .LBB64_86
.LBB64_54:                              ;   in Loop: Header=BB64_33 Depth=1
	s_or_b32 exec_lo, exec_lo, s33
	s_and_saveexec_b32 s33, s21
	s_cbranch_execnz .LBB64_87
.LBB64_55:                              ;   in Loop: Header=BB64_33 Depth=1
	s_or_b32 exec_lo, exec_lo, s33
	s_and_saveexec_b32 s33, s22
	s_cbranch_execnz .LBB64_88
.LBB64_56:                              ;   in Loop: Header=BB64_33 Depth=1
	s_or_b32 exec_lo, exec_lo, s33
	s_and_saveexec_b32 s33, s23
	s_cbranch_execnz .LBB64_89
.LBB64_57:                              ;   in Loop: Header=BB64_33 Depth=1
	s_or_b32 exec_lo, exec_lo, s33
	s_and_saveexec_b32 s33, s24
	s_cbranch_execnz .LBB64_90
.LBB64_58:                              ;   in Loop: Header=BB64_33 Depth=1
	s_or_b32 exec_lo, exec_lo, s33
	s_and_saveexec_b32 s33, s25
	s_cbranch_execnz .LBB64_91
.LBB64_59:                              ;   in Loop: Header=BB64_33 Depth=1
	s_or_b32 exec_lo, exec_lo, s33
	s_and_saveexec_b32 s33, s26
	s_cbranch_execnz .LBB64_92
.LBB64_60:                              ;   in Loop: Header=BB64_33 Depth=1
	s_or_b32 exec_lo, exec_lo, s33
	s_and_saveexec_b32 s33, s27
	s_cbranch_execnz .LBB64_93
.LBB64_61:                              ;   in Loop: Header=BB64_33 Depth=1
	s_or_b32 exec_lo, exec_lo, s33
	s_and_saveexec_b32 s33, s28
	s_cbranch_execnz .LBB64_94
.LBB64_62:                              ;   in Loop: Header=BB64_33 Depth=1
	s_or_b32 exec_lo, exec_lo, s33
	s_and_saveexec_b32 s33, s29
	s_cbranch_execnz .LBB64_95
.LBB64_63:                              ;   in Loop: Header=BB64_33 Depth=1
	s_or_b32 exec_lo, exec_lo, s33
	s_and_saveexec_b32 s33, s30
	s_cbranch_execnz .LBB64_96
.LBB64_64:                              ;   in Loop: Header=BB64_33 Depth=1
	s_or_b32 exec_lo, exec_lo, s33
	v_ashrrev_i32_e32 v8, 31, v7
	s_and_saveexec_b32 s33, s31
	s_cbranch_execnz .LBB64_97
.LBB64_65:                              ;   in Loop: Header=BB64_33 Depth=1
	s_or_b32 exec_lo, exec_lo, s33
	s_and_saveexec_b32 s31, vcc_lo
	s_cbranch_execz .LBB64_32
	s_branch .LBB64_98
.LBB64_66:                              ;   in Loop: Header=BB64_33 Depth=1
	v_mov_b32_e32 v1, s41
	ds_read_b32 v1, v1
	s_waitcnt lgkmcnt(0)
	v_add_nc_u32_e32 v7, v1, v7
	s_or_b32 exec_lo, exec_lo, s33
	s_and_saveexec_b32 s33, s1
	s_cbranch_execz .LBB64_35
.LBB64_67:                              ;   in Loop: Header=BB64_33 Depth=1
	v_mov_b32_e32 v1, s42
	ds_read_b32 v1, v1
	s_waitcnt lgkmcnt(0)
	v_add_nc_u32_e32 v7, v7, v1
	s_or_b32 exec_lo, exec_lo, s33
	s_and_saveexec_b32 s33, s2
	s_cbranch_execz .LBB64_36
.LBB64_68:                              ;   in Loop: Header=BB64_33 Depth=1
	v_mov_b32_e32 v1, s43
	ds_read_b32 v1, v1
	s_waitcnt lgkmcnt(0)
	v_add_nc_u32_e32 v7, v7, v1
	s_or_b32 exec_lo, exec_lo, s33
	s_and_saveexec_b32 s33, s3
	s_cbranch_execz .LBB64_37
.LBB64_69:                              ;   in Loop: Header=BB64_33 Depth=1
	v_mov_b32_e32 v1, s44
	ds_read_b32 v1, v1
	s_waitcnt lgkmcnt(0)
	v_add_nc_u32_e32 v7, v7, v1
	s_or_b32 exec_lo, exec_lo, s33
	s_and_saveexec_b32 s33, s4
	s_cbranch_execz .LBB64_38
.LBB64_70:                              ;   in Loop: Header=BB64_33 Depth=1
	v_mov_b32_e32 v1, s45
	ds_read_b32 v1, v1
	s_waitcnt lgkmcnt(0)
	v_add_nc_u32_e32 v7, v7, v1
	s_or_b32 exec_lo, exec_lo, s33
	s_and_saveexec_b32 s33, s5
	s_cbranch_execz .LBB64_39
.LBB64_71:                              ;   in Loop: Header=BB64_33 Depth=1
	v_mov_b32_e32 v1, s47
	ds_read_b32 v1, v1
	s_waitcnt lgkmcnt(0)
	v_add_nc_u32_e32 v7, v7, v1
	s_or_b32 exec_lo, exec_lo, s33
	s_and_saveexec_b32 s33, s6
	s_cbranch_execz .LBB64_40
.LBB64_72:                              ;   in Loop: Header=BB64_33 Depth=1
	v_mov_b32_e32 v1, s48
	ds_read_b32 v1, v1
	s_waitcnt lgkmcnt(0)
	v_add_nc_u32_e32 v7, v7, v1
	s_or_b32 exec_lo, exec_lo, s33
	s_and_saveexec_b32 s33, s7
	s_cbranch_execz .LBB64_41
.LBB64_73:                              ;   in Loop: Header=BB64_33 Depth=1
	v_mov_b32_e32 v1, s49
	ds_read_b32 v1, v1
	s_waitcnt lgkmcnt(0)
	v_add_nc_u32_e32 v7, v7, v1
	s_or_b32 exec_lo, exec_lo, s33
	s_and_saveexec_b32 s33, s8
	s_cbranch_execz .LBB64_42
.LBB64_74:                              ;   in Loop: Header=BB64_33 Depth=1
	v_mov_b32_e32 v1, s52
	ds_read_b32 v1, v1
	s_waitcnt lgkmcnt(0)
	v_add_nc_u32_e32 v7, v7, v1
	s_or_b32 exec_lo, exec_lo, s33
	s_and_saveexec_b32 s33, s9
	s_cbranch_execz .LBB64_43
.LBB64_75:                              ;   in Loop: Header=BB64_33 Depth=1
	v_mov_b32_e32 v1, s53
	ds_read_b32 v1, v1
	s_waitcnt lgkmcnt(0)
	v_add_nc_u32_e32 v7, v7, v1
	s_or_b32 exec_lo, exec_lo, s33
	s_and_saveexec_b32 s33, s10
	s_cbranch_execz .LBB64_44
.LBB64_76:                              ;   in Loop: Header=BB64_33 Depth=1
	v_mov_b32_e32 v1, s54
	ds_read_b32 v1, v1
	s_waitcnt lgkmcnt(0)
	v_add_nc_u32_e32 v7, v7, v1
	s_or_b32 exec_lo, exec_lo, s33
	s_and_saveexec_b32 s33, s11
	s_cbranch_execz .LBB64_45
.LBB64_77:                              ;   in Loop: Header=BB64_33 Depth=1
	v_mov_b32_e32 v1, s55
	ds_read_b32 v1, v1
	s_waitcnt lgkmcnt(0)
	v_add_nc_u32_e32 v7, v7, v1
	s_or_b32 exec_lo, exec_lo, s33
	s_and_saveexec_b32 s33, s12
	s_cbranch_execz .LBB64_46
.LBB64_78:                              ;   in Loop: Header=BB64_33 Depth=1
	v_mov_b32_e32 v1, s56
	ds_read_b32 v1, v1
	s_waitcnt lgkmcnt(0)
	v_add_nc_u32_e32 v7, v7, v1
	s_or_b32 exec_lo, exec_lo, s33
	s_and_saveexec_b32 s33, s13
	s_cbranch_execz .LBB64_47
.LBB64_79:                              ;   in Loop: Header=BB64_33 Depth=1
	v_mov_b32_e32 v1, s57
	ds_read_b32 v1, v1
	s_waitcnt lgkmcnt(0)
	v_add_nc_u32_e32 v7, v7, v1
	s_or_b32 exec_lo, exec_lo, s33
	s_and_saveexec_b32 s33, s14
	s_cbranch_execz .LBB64_48
.LBB64_80:                              ;   in Loop: Header=BB64_33 Depth=1
	v_mov_b32_e32 v1, s58
	ds_read_b32 v1, v1
	s_waitcnt lgkmcnt(0)
	v_add_nc_u32_e32 v7, v7, v1
	s_or_b32 exec_lo, exec_lo, s33
	s_and_saveexec_b32 s33, s15
	s_cbranch_execz .LBB64_49
.LBB64_81:                              ;   in Loop: Header=BB64_33 Depth=1
	v_mov_b32_e32 v1, s59
	ds_read_b32 v1, v1
	s_waitcnt lgkmcnt(0)
	v_add_nc_u32_e32 v7, v7, v1
	s_or_b32 exec_lo, exec_lo, s33
	s_and_saveexec_b32 s33, s16
	s_cbranch_execz .LBB64_50
.LBB64_82:                              ;   in Loop: Header=BB64_33 Depth=1
	v_mov_b32_e32 v1, s60
	ds_read_b32 v1, v1
	s_waitcnt lgkmcnt(0)
	v_add_nc_u32_e32 v7, v7, v1
	s_or_b32 exec_lo, exec_lo, s33
	s_and_saveexec_b32 s33, s17
	s_cbranch_execz .LBB64_51
.LBB64_83:                              ;   in Loop: Header=BB64_33 Depth=1
	v_mov_b32_e32 v1, s61
	ds_read_b32 v1, v1
	s_waitcnt lgkmcnt(0)
	v_add_nc_u32_e32 v7, v7, v1
	s_or_b32 exec_lo, exec_lo, s33
	s_and_saveexec_b32 s33, s18
	s_cbranch_execz .LBB64_52
.LBB64_84:                              ;   in Loop: Header=BB64_33 Depth=1
	v_mov_b32_e32 v1, s62
	ds_read_b32 v1, v1
	s_waitcnt lgkmcnt(0)
	v_add_nc_u32_e32 v7, v7, v1
	s_or_b32 exec_lo, exec_lo, s33
	s_and_saveexec_b32 s33, s19
	s_cbranch_execz .LBB64_53
.LBB64_85:                              ;   in Loop: Header=BB64_33 Depth=1
	v_mov_b32_e32 v1, s63
	ds_read_b32 v1, v1
	s_waitcnt lgkmcnt(0)
	v_add_nc_u32_e32 v7, v7, v1
	s_or_b32 exec_lo, exec_lo, s33
	s_and_saveexec_b32 s33, s20
	s_cbranch_execz .LBB64_54
.LBB64_86:                              ;   in Loop: Header=BB64_33 Depth=1
	v_mov_b32_e32 v1, s64
	ds_read_b32 v1, v1
	s_waitcnt lgkmcnt(0)
	v_add_nc_u32_e32 v7, v7, v1
	s_or_b32 exec_lo, exec_lo, s33
	s_and_saveexec_b32 s33, s21
	s_cbranch_execz .LBB64_55
.LBB64_87:                              ;   in Loop: Header=BB64_33 Depth=1
	v_mov_b32_e32 v1, s65
	ds_read_b32 v1, v1
	s_waitcnt lgkmcnt(0)
	v_add_nc_u32_e32 v7, v7, v1
	s_or_b32 exec_lo, exec_lo, s33
	s_and_saveexec_b32 s33, s22
	s_cbranch_execz .LBB64_56
.LBB64_88:                              ;   in Loop: Header=BB64_33 Depth=1
	v_mov_b32_e32 v1, s66
	ds_read_b32 v1, v1
	s_waitcnt lgkmcnt(0)
	v_add_nc_u32_e32 v7, v7, v1
	s_or_b32 exec_lo, exec_lo, s33
	s_and_saveexec_b32 s33, s23
	s_cbranch_execz .LBB64_57
.LBB64_89:                              ;   in Loop: Header=BB64_33 Depth=1
	v_mov_b32_e32 v1, s67
	ds_read_b32 v1, v1
	s_waitcnt lgkmcnt(0)
	v_add_nc_u32_e32 v7, v7, v1
	s_or_b32 exec_lo, exec_lo, s33
	s_and_saveexec_b32 s33, s24
	s_cbranch_execz .LBB64_58
.LBB64_90:                              ;   in Loop: Header=BB64_33 Depth=1
	v_mov_b32_e32 v1, s68
	ds_read_b32 v1, v1
	s_waitcnt lgkmcnt(0)
	v_add_nc_u32_e32 v7, v7, v1
	s_or_b32 exec_lo, exec_lo, s33
	s_and_saveexec_b32 s33, s25
	s_cbranch_execz .LBB64_59
.LBB64_91:                              ;   in Loop: Header=BB64_33 Depth=1
	v_mov_b32_e32 v1, s69
	ds_read_b32 v1, v1
	s_waitcnt lgkmcnt(0)
	v_add_nc_u32_e32 v7, v7, v1
	s_or_b32 exec_lo, exec_lo, s33
	s_and_saveexec_b32 s33, s26
	s_cbranch_execz .LBB64_60
.LBB64_92:                              ;   in Loop: Header=BB64_33 Depth=1
	v_mov_b32_e32 v1, s70
	ds_read_b32 v1, v1
	s_waitcnt lgkmcnt(0)
	v_add_nc_u32_e32 v7, v7, v1
	s_or_b32 exec_lo, exec_lo, s33
	s_and_saveexec_b32 s33, s27
	s_cbranch_execz .LBB64_61
.LBB64_93:                              ;   in Loop: Header=BB64_33 Depth=1
	v_mov_b32_e32 v1, s71
	ds_read_b32 v1, v1
	s_waitcnt lgkmcnt(0)
	v_add_nc_u32_e32 v7, v7, v1
	s_or_b32 exec_lo, exec_lo, s33
	s_and_saveexec_b32 s33, s28
	s_cbranch_execz .LBB64_62
.LBB64_94:                              ;   in Loop: Header=BB64_33 Depth=1
	v_mov_b32_e32 v1, s72
	ds_read_b32 v1, v1
	s_waitcnt lgkmcnt(0)
	v_add_nc_u32_e32 v7, v7, v1
	s_or_b32 exec_lo, exec_lo, s33
	s_and_saveexec_b32 s33, s29
	s_cbranch_execz .LBB64_63
.LBB64_95:                              ;   in Loop: Header=BB64_33 Depth=1
	v_mov_b32_e32 v1, s73
	ds_read_b32 v1, v1
	s_waitcnt lgkmcnt(0)
	v_add_nc_u32_e32 v7, v7, v1
	s_or_b32 exec_lo, exec_lo, s33
	s_and_saveexec_b32 s33, s30
	s_cbranch_execz .LBB64_64
.LBB64_96:                              ;   in Loop: Header=BB64_33 Depth=1
	v_mov_b32_e32 v1, s74
	ds_read_b32 v1, v1
	s_waitcnt lgkmcnt(0)
	v_add_nc_u32_e32 v7, v7, v1
	s_or_b32 exec_lo, exec_lo, s33
	v_ashrrev_i32_e32 v8, 31, v7
	s_and_saveexec_b32 s33, s31
	s_cbranch_execz .LBB64_65
.LBB64_97:                              ;   in Loop: Header=BB64_33 Depth=1
	v_lshlrev_b32_e32 v1, 3, v3
	v_lshlrev_b32_e32 v13, 3, v7
	v_add_nc_u32_e32 v1, 0, v1
	v_add3_u32 v1, v1, v13, -8
	ds_write_b64 v1, v[5:6]
	s_or_b32 exec_lo, exec_lo, s33
	s_and_saveexec_b32 s31, vcc_lo
	s_cbranch_execz .LBB64_32
.LBB64_98:                              ;   in Loop: Header=BB64_33 Depth=1
	v_mov_b32_e32 v1, s75
	ds_write_b64 v1, v[7:8]
	s_branch .LBB64_32
.LBB64_99:
	s_or_b32 exec_lo, exec_lo, s40
	s_lshl_b64 s[0:1], s[38:39], 3
	v_mov_b32_e32 v1, 0
	s_add_u32 s0, s50, s0
	s_addc_u32 s1, s51, s1
	s_mov_b32 s6, exec_lo
	s_load_dwordx4 s[0:3], s[0:1], 0x0
	s_waitcnt lgkmcnt(0)
	s_sub_u32 s4, s2, s0
	s_subb_u32 s5, s3, s1
	v_cmpx_gt_i64_e64 s[4:5], v[0:1]
	s_cbranch_execz .LBB64_109
; %bb.100:
	s_sub_u32 s8, s0, s46
	s_subb_u32 s9, s1, 0
	s_and_b32 s6, s4, 7
	s_sub_u32 s0, s0, s2
	s_subb_u32 s1, s1, s3
	s_mov_b32 s7, 0
	v_cmp_lt_u64_e64 s12, s[0:1], -7
	s_and_b32 s2, s4, -8
	s_cmp_lg_u64 s[6:7], 0
	s_mov_b32 s3, s5
	s_cselect_b32 s13, -1, 0
	s_mov_b32 s14, s7
	s_branch .LBB64_102
.LBB64_101:                             ;   in Loop: Header=BB64_102 Depth=1
	v_add_co_u32 v0, vcc_lo, 0x400, v0
	v_lshlrev_b64 v[4:5], 3, v[4:5]
	v_add_co_ci_u32_e64 v1, null, 0, v1, vcc_lo
	s_waitcnt lgkmcnt(0)
	v_add_co_u32 v2, vcc_lo, v2, s46
	v_add_co_ci_u32_e64 v3, null, 0, v3, vcc_lo
	v_cmp_le_i64_e32 vcc_lo, s[4:5], v[0:1]
	v_add_co_u32 v4, s0, s34, v4
	v_add_co_ci_u32_e64 v5, null, s35, v5, s0
	s_or_b32 s14, vcc_lo, s14
	global_store_dwordx2 v[4:5], v[2:3], off
	s_andn2_b32 exec_lo, exec_lo, s14
	s_cbranch_execz .LBB64_109
.LBB64_102:                             ; =>This Loop Header: Depth=1
                                        ;     Child Loop BB64_104 Depth 2
                                        ;     Child Loop BB64_108 Depth 2
	v_lshl_add_u32 v2, v0, 3, 0
	v_mov_b32_e32 v4, s8
	v_mov_b32_e32 v5, s9
	s_andn2_b32 vcc_lo, exec_lo, s12
	s_mov_b64 s[0:1], 0
	ds_read_b64 v[2:3], v2
	s_cbranch_vccnz .LBB64_106
; %bb.103:                              ;   in Loop: Header=BB64_102 Depth=1
	v_mov_b32_e32 v4, s8
	v_mov_b32_e32 v5, s9
	s_mov_b64 s[10:11], 0
	s_mov_b32 s1, 0
.LBB64_104:                             ;   Parent Loop BB64_102 Depth=1
                                        ; =>  This Inner Loop Header: Depth=2
	v_mov_b32_e32 v18, s1
	s_add_u32 s10, s10, 8
	s_addc_u32 s11, s11, 0
	s_add_i32 s1, s1, 64
	s_cmp_eq_u64 s[2:3], s[10:11]
	ds_read2_b64 v[6:9], v18 offset1:1
	ds_read2_b64 v[10:13], v18 offset0:2 offset1:3
	ds_read2_b64 v[14:17], v18 offset0:4 offset1:5
	;; [unrolled: 1-line block ×3, first 2 shown]
	s_waitcnt lgkmcnt(3)
	v_cmp_gt_i64_e32 vcc_lo, v[2:3], v[6:7]
	v_cndmask_b32_e64 v6, 0, 1, vcc_lo
	v_cmp_gt_i64_e32 vcc_lo, v[2:3], v[8:9]
	v_cndmask_b32_e64 v7, 0, 1, vcc_lo
	s_waitcnt lgkmcnt(2)
	v_cmp_gt_i64_e32 vcc_lo, v[2:3], v[10:11]
	v_cndmask_b32_e64 v8, 0, 1, vcc_lo
	v_cmp_gt_i64_e32 vcc_lo, v[2:3], v[12:13]
	v_cndmask_b32_e64 v9, 0, 1, vcc_lo
	s_waitcnt lgkmcnt(1)
	v_cmp_gt_i64_e32 vcc_lo, v[2:3], v[14:15]
	v_cndmask_b32_e64 v10, 0, 1, vcc_lo
	v_add_co_u32 v4, vcc_lo, v4, v6
	v_add_co_ci_u32_e64 v5, null, 0, v5, vcc_lo
	v_cmp_gt_i64_e32 vcc_lo, v[2:3], v[16:17]
	v_add_co_u32 v4, s0, v4, v7
	v_add_co_ci_u32_e64 v5, null, 0, v5, s0
	v_cndmask_b32_e64 v6, 0, 1, vcc_lo
	v_add_co_u32 v4, vcc_lo, v4, v8
	v_add_co_ci_u32_e64 v5, null, 0, v5, vcc_lo
	s_waitcnt lgkmcnt(0)
	v_cmp_gt_i64_e32 vcc_lo, v[2:3], v[18:19]
	v_add_co_u32 v4, s0, v4, v9
	v_add_co_ci_u32_e64 v5, null, 0, v5, s0
	v_cndmask_b32_e64 v7, 0, 1, vcc_lo
	v_add_co_u32 v4, vcc_lo, v4, v10
	v_add_co_ci_u32_e64 v5, null, 0, v5, vcc_lo
	v_cmp_gt_i64_e32 vcc_lo, v[2:3], v[20:21]
	v_add_co_u32 v4, s0, v4, v6
	v_add_co_ci_u32_e64 v5, null, 0, v5, s0
	v_cndmask_b32_e64 v6, 0, 1, vcc_lo
	v_add_co_u32 v4, vcc_lo, v4, v7
	v_add_co_ci_u32_e64 v5, null, 0, v5, vcc_lo
	v_add_co_u32 v4, vcc_lo, v4, v6
	v_add_co_ci_u32_e64 v5, null, 0, v5, vcc_lo
	s_cbranch_scc0 .LBB64_104
; %bb.105:                              ;   in Loop: Header=BB64_102 Depth=1
	s_mov_b64 s[0:1], s[2:3]
.LBB64_106:                             ;   in Loop: Header=BB64_102 Depth=1
	s_andn2_b32 vcc_lo, exec_lo, s13
	s_cbranch_vccnz .LBB64_101
; %bb.107:                              ;   in Loop: Header=BB64_102 Depth=1
	s_lshl_b32 s0, s0, 3
	s_add_i32 s10, s0, 0
	s_mov_b64 s[0:1], s[6:7]
.LBB64_108:                             ;   Parent Loop BB64_102 Depth=1
                                        ; =>  This Inner Loop Header: Depth=2
	v_mov_b32_e32 v6, s10
	s_add_i32 s10, s10, 8
	s_add_u32 s0, s0, -1
	s_addc_u32 s1, s1, -1
	s_cmp_lg_u64 s[0:1], 0
	ds_read_b64 v[6:7], v6
	s_waitcnt lgkmcnt(0)
	v_cmp_gt_i64_e32 vcc_lo, v[2:3], v[6:7]
	v_cndmask_b32_e64 v6, 0, 1, vcc_lo
	v_add_co_u32 v4, vcc_lo, v4, v6
	v_add_co_ci_u32_e64 v5, null, 0, v5, vcc_lo
	s_cbranch_scc1 .LBB64_108
	s_branch .LBB64_101
.LBB64_109:
	s_endpgm
	.section	.rodata,"a",@progbits
	.p2align	6, 0x0
	.amdhsa_kernel _ZN9rocsparseL35csrgemm_symbolic_fill_block_per_rowILj1024ELj64ELj16384ELj137ELj32EllEEvT5_PKS1_S3_PKT4_S3_S6_S3_S6_S3_S6_PS1_21rocsparse_index_base_S8_S8_S8_bb
		.amdhsa_group_segment_fixed_size 0
		.amdhsa_private_segment_fixed_size 0
		.amdhsa_kernarg_size 108
		.amdhsa_user_sgpr_count 6
		.amdhsa_user_sgpr_private_segment_buffer 1
		.amdhsa_user_sgpr_dispatch_ptr 0
		.amdhsa_user_sgpr_queue_ptr 0
		.amdhsa_user_sgpr_kernarg_segment_ptr 1
		.amdhsa_user_sgpr_dispatch_id 0
		.amdhsa_user_sgpr_flat_scratch_init 0
		.amdhsa_user_sgpr_private_segment_size 0
		.amdhsa_wavefront_size32 1
		.amdhsa_uses_dynamic_stack 0
		.amdhsa_system_sgpr_private_segment_wavefront_offset 0
		.amdhsa_system_sgpr_workgroup_id_x 1
		.amdhsa_system_sgpr_workgroup_id_y 0
		.amdhsa_system_sgpr_workgroup_id_z 0
		.amdhsa_system_sgpr_workgroup_info 0
		.amdhsa_system_vgpr_workitem_id 0
		.amdhsa_next_free_vgpr 22
		.amdhsa_next_free_sgpr 76
		.amdhsa_reserve_vcc 1
		.amdhsa_reserve_flat_scratch 0
		.amdhsa_float_round_mode_32 0
		.amdhsa_float_round_mode_16_64 0
		.amdhsa_float_denorm_mode_32 3
		.amdhsa_float_denorm_mode_16_64 3
		.amdhsa_dx10_clamp 1
		.amdhsa_ieee_mode 1
		.amdhsa_fp16_overflow 0
		.amdhsa_workgroup_processor_mode 1
		.amdhsa_memory_ordered 1
		.amdhsa_forward_progress 1
		.amdhsa_shared_vgpr_count 0
		.amdhsa_exception_fp_ieee_invalid_op 0
		.amdhsa_exception_fp_denorm_src 0
		.amdhsa_exception_fp_ieee_div_zero 0
		.amdhsa_exception_fp_ieee_overflow 0
		.amdhsa_exception_fp_ieee_underflow 0
		.amdhsa_exception_fp_ieee_inexact 0
		.amdhsa_exception_int_div_zero 0
	.end_amdhsa_kernel
	.section	.text._ZN9rocsparseL35csrgemm_symbolic_fill_block_per_rowILj1024ELj64ELj16384ELj137ELj32EllEEvT5_PKS1_S3_PKT4_S3_S6_S3_S6_S3_S6_PS1_21rocsparse_index_base_S8_S8_S8_bb,"axG",@progbits,_ZN9rocsparseL35csrgemm_symbolic_fill_block_per_rowILj1024ELj64ELj16384ELj137ELj32EllEEvT5_PKS1_S3_PKT4_S3_S6_S3_S6_S3_S6_PS1_21rocsparse_index_base_S8_S8_S8_bb,comdat
.Lfunc_end64:
	.size	_ZN9rocsparseL35csrgemm_symbolic_fill_block_per_rowILj1024ELj64ELj16384ELj137ELj32EllEEvT5_PKS1_S3_PKT4_S3_S6_S3_S6_S3_S6_PS1_21rocsparse_index_base_S8_S8_S8_bb, .Lfunc_end64-_ZN9rocsparseL35csrgemm_symbolic_fill_block_per_rowILj1024ELj64ELj16384ELj137ELj32EllEEvT5_PKS1_S3_PKT4_S3_S6_S3_S6_S3_S6_PS1_21rocsparse_index_base_S8_S8_S8_bb
                                        ; -- End function
	.set _ZN9rocsparseL35csrgemm_symbolic_fill_block_per_rowILj1024ELj64ELj16384ELj137ELj32EllEEvT5_PKS1_S3_PKT4_S3_S6_S3_S6_S3_S6_PS1_21rocsparse_index_base_S8_S8_S8_bb.num_vgpr, 22
	.set _ZN9rocsparseL35csrgemm_symbolic_fill_block_per_rowILj1024ELj64ELj16384ELj137ELj32EllEEvT5_PKS1_S3_PKT4_S3_S6_S3_S6_S3_S6_PS1_21rocsparse_index_base_S8_S8_S8_bb.num_agpr, 0
	.set _ZN9rocsparseL35csrgemm_symbolic_fill_block_per_rowILj1024ELj64ELj16384ELj137ELj32EllEEvT5_PKS1_S3_PKT4_S3_S6_S3_S6_S3_S6_PS1_21rocsparse_index_base_S8_S8_S8_bb.numbered_sgpr, 76
	.set _ZN9rocsparseL35csrgemm_symbolic_fill_block_per_rowILj1024ELj64ELj16384ELj137ELj32EllEEvT5_PKS1_S3_PKT4_S3_S6_S3_S6_S3_S6_PS1_21rocsparse_index_base_S8_S8_S8_bb.num_named_barrier, 0
	.set _ZN9rocsparseL35csrgemm_symbolic_fill_block_per_rowILj1024ELj64ELj16384ELj137ELj32EllEEvT5_PKS1_S3_PKT4_S3_S6_S3_S6_S3_S6_PS1_21rocsparse_index_base_S8_S8_S8_bb.private_seg_size, 0
	.set _ZN9rocsparseL35csrgemm_symbolic_fill_block_per_rowILj1024ELj64ELj16384ELj137ELj32EllEEvT5_PKS1_S3_PKT4_S3_S6_S3_S6_S3_S6_PS1_21rocsparse_index_base_S8_S8_S8_bb.uses_vcc, 1
	.set _ZN9rocsparseL35csrgemm_symbolic_fill_block_per_rowILj1024ELj64ELj16384ELj137ELj32EllEEvT5_PKS1_S3_PKT4_S3_S6_S3_S6_S3_S6_PS1_21rocsparse_index_base_S8_S8_S8_bb.uses_flat_scratch, 0
	.set _ZN9rocsparseL35csrgemm_symbolic_fill_block_per_rowILj1024ELj64ELj16384ELj137ELj32EllEEvT5_PKS1_S3_PKT4_S3_S6_S3_S6_S3_S6_PS1_21rocsparse_index_base_S8_S8_S8_bb.has_dyn_sized_stack, 0
	.set _ZN9rocsparseL35csrgemm_symbolic_fill_block_per_rowILj1024ELj64ELj16384ELj137ELj32EllEEvT5_PKS1_S3_PKT4_S3_S6_S3_S6_S3_S6_PS1_21rocsparse_index_base_S8_S8_S8_bb.has_recursion, 0
	.set _ZN9rocsparseL35csrgemm_symbolic_fill_block_per_rowILj1024ELj64ELj16384ELj137ELj32EllEEvT5_PKS1_S3_PKT4_S3_S6_S3_S6_S3_S6_PS1_21rocsparse_index_base_S8_S8_S8_bb.has_indirect_call, 0
	.section	.AMDGPU.csdata,"",@progbits
; Kernel info:
; codeLenInByte = 4284
; TotalNumSgprs: 78
; NumVgprs: 22
; ScratchSize: 0
; MemoryBound: 0
; FloatMode: 240
; IeeeMode: 1
; LDSByteSize: 0 bytes/workgroup (compile time only)
; SGPRBlocks: 0
; VGPRBlocks: 2
; NumSGPRsForWavesPerEU: 78
; NumVGPRsForWavesPerEU: 22
; Occupancy: 16
; WaveLimiterHint : 1
; COMPUTE_PGM_RSRC2:SCRATCH_EN: 0
; COMPUTE_PGM_RSRC2:USER_SGPR: 6
; COMPUTE_PGM_RSRC2:TRAP_HANDLER: 0
; COMPUTE_PGM_RSRC2:TGID_X_EN: 1
; COMPUTE_PGM_RSRC2:TGID_Y_EN: 0
; COMPUTE_PGM_RSRC2:TGID_Z_EN: 0
; COMPUTE_PGM_RSRC2:TIDIG_COMP_CNT: 0
	.section	.text._ZN9rocsparseL35csrgemm_symbolic_fill_block_per_rowILj1024ELj64ELj16384ELj137ELj64EllEEvT5_PKS1_S3_PKT4_S3_S6_S3_S6_S3_S6_PS1_21rocsparse_index_base_S8_S8_S8_bb,"axG",@progbits,_ZN9rocsparseL35csrgemm_symbolic_fill_block_per_rowILj1024ELj64ELj16384ELj137ELj64EllEEvT5_PKS1_S3_PKT4_S3_S6_S3_S6_S3_S6_PS1_21rocsparse_index_base_S8_S8_S8_bb,comdat
	.globl	_ZN9rocsparseL35csrgemm_symbolic_fill_block_per_rowILj1024ELj64ELj16384ELj137ELj64EllEEvT5_PKS1_S3_PKT4_S3_S6_S3_S6_S3_S6_PS1_21rocsparse_index_base_S8_S8_S8_bb ; -- Begin function _ZN9rocsparseL35csrgemm_symbolic_fill_block_per_rowILj1024ELj64ELj16384ELj137ELj64EllEEvT5_PKS1_S3_PKT4_S3_S6_S3_S6_S3_S6_PS1_21rocsparse_index_base_S8_S8_S8_bb
	.p2align	8
	.type	_ZN9rocsparseL35csrgemm_symbolic_fill_block_per_rowILj1024ELj64ELj16384ELj137ELj64EllEEvT5_PKS1_S3_PKT4_S3_S6_S3_S6_S3_S6_PS1_21rocsparse_index_base_S8_S8_S8_bb,@function
_ZN9rocsparseL35csrgemm_symbolic_fill_block_per_rowILj1024ELj64ELj16384ELj137ELj64EllEEvT5_PKS1_S3_PKT4_S3_S6_S3_S6_S3_S6_PS1_21rocsparse_index_base_S8_S8_S8_bb: ; @_ZN9rocsparseL35csrgemm_symbolic_fill_block_per_rowILj1024ELj64ELj16384ELj137ELj64EllEEvT5_PKS1_S3_PKT4_S3_S6_S3_S6_S3_S6_PS1_21rocsparse_index_base_S8_S8_S8_bb
; %bb.0:
	s_clause 0x3
	s_load_dwordx8 s[20:27], s[4:5], 0x0
	s_load_dwordx2 s[34:35], s[4:5], 0x50
	s_load_dwordx4 s[28:31], s[4:5], 0x40
	s_load_dwordx8 s[8:15], s[4:5], 0x20
	v_lshl_add_u32 v11, v0, 3, 0
	v_or_b32_e32 v12, 0xfffffc00, v0
	s_mov_b32 s0, 0
	v_mov_b32_e32 v3, v11
	v_mov_b32_e32 v4, v12
	s_waitcnt lgkmcnt(0)
	v_mov_b32_e32 v1, s20
	v_mov_b32_e32 v2, s21
.LBB65_1:                               ; =>This Inner Loop Header: Depth=1
	v_add_nc_u32_e32 v4, 0x400, v4
	ds_write_b64 v3, v[1:2]
	v_add_nc_u32_e32 v3, 0x2000, v3
	v_cmp_lt_u32_e32 vcc_lo, 0x3bff, v4
	s_or_b32 s0, vcc_lo, s0
	s_andn2_b32 exec_lo, exec_lo, s0
	s_cbranch_execnz .LBB65_1
; %bb.2:
	s_or_b32 exec_lo, exec_lo, s0
	s_load_dword s2, s[4:5], 0x68
	s_waitcnt lgkmcnt(0)
	s_barrier
	buffer_gl0_inv
	s_load_dwordx2 s[0:1], s[22:23], 0x0
	s_mov_b32 s7, 0
	v_lshrrev_b32_e32 v13, 6, v0
	s_bitcmp1_b32 s2, 0
	s_cselect_b32 s3, -1, 0
	s_waitcnt lgkmcnt(0)
	s_lshl_b64 s[0:1], s[0:1], 3
	s_add_u32 s16, s24, s0
	s_addc_u32 s17, s25, s1
	s_lshl_b64 s[0:1], s[6:7], 3
	s_add_u32 s0, s16, s0
	s_addc_u32 s1, s17, s1
	s_load_dwordx4 s[16:19], s[4:5], 0x58
	s_load_dwordx2 s[22:23], s[0:1], 0x0
	s_and_b32 vcc_lo, exec_lo, s3
	s_cbranch_vccz .LBB65_18
; %bb.3:
	s_waitcnt lgkmcnt(0)
	s_lshl_b64 s[0:1], s[22:23], 3
	s_mov_b32 s3, exec_lo
	s_add_u32 s0, s26, s0
	s_addc_u32 s1, s27, s1
	s_load_dwordx4 s[4:7], s[0:1], 0x0
	v_sub_co_u32 v1, s0, v13, s16
	v_sub_co_ci_u32_e64 v2, null, 0, 0, s0
	s_waitcnt lgkmcnt(0)
	v_add_co_u32 v1, vcc_lo, s4, v1
	v_add_co_ci_u32_e64 v2, null, s5, v2, vcc_lo
	s_sub_u32 s0, s6, s16
	s_subb_u32 s1, s7, 0
	v_cmpx_gt_i64_e64 s[0:1], v[1:2]
	s_cbranch_execz .LBB65_17
; %bb.4:
	v_and_b32_e32 v3, 63, v0
	s_mov_b32 s5, s17
	v_sub_co_u32 v14, s4, v3, s17
	v_sub_co_ci_u32_e64 v15, null, 0, 0, s4
	s_mov_b32 s4, 0
	s_branch .LBB65_6
.LBB65_5:                               ;   in Loop: Header=BB65_6 Depth=1
	s_or_b32 exec_lo, exec_lo, s6
	v_add_co_u32 v1, vcc_lo, v1, 16
	v_add_co_ci_u32_e64 v2, null, 0, v2, vcc_lo
	v_cmp_le_i64_e32 vcc_lo, s[0:1], v[1:2]
	s_or_b32 s4, vcc_lo, s4
	s_andn2_b32 exec_lo, exec_lo, s4
	s_cbranch_execz .LBB65_17
.LBB65_6:                               ; =>This Loop Header: Depth=1
                                        ;     Child Loop BB65_9 Depth 2
                                        ;       Child Loop BB65_12 Depth 3
	v_lshlrev_b64 v[3:4], 3, v[1:2]
	s_mov_b32 s6, exec_lo
	v_add_co_u32 v3, vcc_lo, s8, v3
	v_add_co_ci_u32_e64 v4, null, s9, v4, vcc_lo
	global_load_dwordx2 v[3:4], v[3:4], off
	s_waitcnt vmcnt(0)
	v_sub_co_u32 v3, vcc_lo, v3, s16
	v_subrev_co_ci_u32_e64 v4, null, 0, v4, vcc_lo
	v_lshlrev_b64 v[3:4], 3, v[3:4]
	v_add_co_u32 v3, vcc_lo, s10, v3
	v_add_co_ci_u32_e64 v4, null, s11, v4, vcc_lo
	global_load_dwordx4 v[5:8], v[3:4], off
	s_waitcnt vmcnt(0)
	v_sub_co_u32 v3, vcc_lo, v7, s5
	v_subrev_co_ci_u32_e64 v4, null, 0, v8, vcc_lo
	v_add_co_u32 v5, vcc_lo, v5, v14
	v_add_co_ci_u32_e64 v6, null, v6, v15, vcc_lo
	v_cmpx_lt_i64_e64 v[5:6], v[3:4]
	s_cbranch_execz .LBB65_5
; %bb.7:                                ;   in Loop: Header=BB65_6 Depth=1
	s_mov_b32 s7, 0
	s_branch .LBB65_9
.LBB65_8:                               ;   in Loop: Header=BB65_9 Depth=2
	s_inst_prefetch 0x2
	s_or_b32 exec_lo, exec_lo, s17
	v_add_co_u32 v5, vcc_lo, v5, 64
	v_add_co_ci_u32_e64 v6, null, 0, v6, vcc_lo
	v_cmp_ge_i64_e32 vcc_lo, v[5:6], v[3:4]
	s_or_b32 s7, vcc_lo, s7
	s_andn2_b32 exec_lo, exec_lo, s7
	s_cbranch_execz .LBB65_5
.LBB65_9:                               ;   Parent Loop BB65_6 Depth=1
                                        ; =>  This Loop Header: Depth=2
                                        ;       Child Loop BB65_12 Depth 3
	v_lshlrev_b64 v[7:8], 3, v[5:6]
	s_mov_b32 s17, 0
                                        ; implicit-def: $sgpr24
	v_add_co_u32 v7, vcc_lo, s12, v7
	v_add_co_ci_u32_e64 v8, null, s13, v8, vcc_lo
	global_load_dwordx2 v[7:8], v[7:8], off
	s_waitcnt vmcnt(0)
	v_sub_co_u32 v7, vcc_lo, v7, s5
	v_subrev_co_ci_u32_e64 v8, null, 0, v8, vcc_lo
	v_mul_lo_u32 v9, 0x89, v7
	v_and_b32_e32 v16, 0x3fff, v9
	s_inst_prefetch 0x1
	s_branch .LBB65_12
	.p2align	6
.LBB65_10:                              ;   in Loop: Header=BB65_12 Depth=3
	s_or_b32 exec_lo, exec_lo, s26
	s_andn2_b32 s24, s24, exec_lo
	s_and_b32 s26, s27, exec_lo
	s_or_b32 s24, s24, s26
.LBB65_11:                              ;   in Loop: Header=BB65_12 Depth=3
	s_or_b32 exec_lo, exec_lo, s25
	s_xor_b32 s25, s24, -1
	s_and_b32 s25, exec_lo, s25
	s_or_b32 s17, s25, s17
	s_andn2_b32 exec_lo, exec_lo, s17
	s_cbranch_execz .LBB65_8
.LBB65_12:                              ;   Parent Loop BB65_6 Depth=1
                                        ;     Parent Loop BB65_9 Depth=2
                                        ; =>    This Inner Loop Header: Depth=3
	v_lshl_add_u32 v17, v16, 3, 0
	s_andn2_b32 s24, s24, exec_lo
	s_mov_b32 s25, exec_lo
	ds_read_b64 v[9:10], v17
	s_waitcnt lgkmcnt(0)
	v_cmpx_ne_u64_e64 v[9:10], v[7:8]
	s_cbranch_execz .LBB65_11
; %bb.13:                               ;   in Loop: Header=BB65_12 Depth=3
	s_mov_b32 s26, exec_lo
	v_cmpx_ne_u64_e64 s[20:21], v[9:10]
	s_xor_b32 s26, exec_lo, s26
; %bb.14:                               ;   in Loop: Header=BB65_12 Depth=3
	v_add_nc_u32_e32 v9, 1, v16
                                        ; implicit-def: $vgpr17
	v_and_b32_e32 v16, 0x3fff, v9
; %bb.15:                               ;   in Loop: Header=BB65_12 Depth=3
	s_or_saveexec_b32 s26, s26
	s_mov_b32 s27, -1
	s_xor_b32 exec_lo, exec_lo, s26
	s_cbranch_execz .LBB65_10
; %bb.16:                               ;   in Loop: Header=BB65_12 Depth=3
	v_mov_b32_e32 v9, s20
	v_mov_b32_e32 v10, s21
	ds_cmpst_rtn_b64 v[9:10], v17, v[9:10], v[7:8]
	s_waitcnt lgkmcnt(0)
	v_cmp_ne_u64_e32 vcc_lo, s[20:21], v[9:10]
	s_orn2_b32 s27, vcc_lo, exec_lo
	s_branch .LBB65_10
.LBB65_17:
	s_or_b32 exec_lo, exec_lo, s3
.LBB65_18:
	s_bfe_u32 s0, s2, 0x10008
	s_cmp_eq_u32 s0, 0
	s_cbranch_scc1 .LBB65_31
; %bb.19:
	s_waitcnt lgkmcnt(0)
	s_lshl_b64 s[0:1], s[22:23], 3
	v_sub_co_u32 v1, s4, v0, s19
	s_add_u32 s0, s14, s0
	s_addc_u32 s1, s15, s1
	v_sub_co_ci_u32_e64 v2, null, 0, 0, s4
	s_load_dwordx4 s[0:3], s[0:1], 0x0
	s_waitcnt lgkmcnt(0)
	v_add_co_u32 v1, vcc_lo, s0, v1
	v_add_co_ci_u32_e64 v2, null, s1, v2, vcc_lo
	s_sub_u32 s0, s2, s19
	s_subb_u32 s1, s3, 0
	s_mov_b32 s2, 0
	s_mov_b32 s3, exec_lo
	v_cmpx_gt_i64_e64 s[0:1], v[1:2]
	s_cbranch_execz .LBB65_30
; %bb.20:
	s_mov_b32 s4, s19
	s_branch .LBB65_22
.LBB65_21:                              ;   in Loop: Header=BB65_22 Depth=1
	s_inst_prefetch 0x2
	s_or_b32 exec_lo, exec_lo, s5
	v_add_co_u32 v1, vcc_lo, 0x400, v1
	v_add_co_ci_u32_e64 v2, null, 0, v2, vcc_lo
	v_cmp_le_i64_e32 vcc_lo, s[0:1], v[1:2]
	s_or_b32 s2, vcc_lo, s2
	s_andn2_b32 exec_lo, exec_lo, s2
	s_cbranch_execz .LBB65_30
.LBB65_22:                              ; =>This Loop Header: Depth=1
                                        ;     Child Loop BB65_25 Depth 2
	v_lshlrev_b64 v[3:4], 3, v[1:2]
	s_mov_b32 s5, 0
                                        ; implicit-def: $sgpr6
	v_add_co_u32 v3, vcc_lo, s28, v3
	v_add_co_ci_u32_e64 v4, null, s29, v4, vcc_lo
	global_load_dwordx2 v[3:4], v[3:4], off
	s_waitcnt vmcnt(0)
	v_sub_co_u32 v3, vcc_lo, v3, s4
	v_subrev_co_ci_u32_e64 v4, null, 0, v4, vcc_lo
	v_mul_lo_u32 v5, 0x89, v3
	v_and_b32_e32 v7, 0x3fff, v5
	s_inst_prefetch 0x1
	s_branch .LBB65_25
	.p2align	6
.LBB65_23:                              ;   in Loop: Header=BB65_25 Depth=2
	s_or_b32 exec_lo, exec_lo, s8
	s_andn2_b32 s6, s6, exec_lo
	s_and_b32 s8, s9, exec_lo
	s_or_b32 s6, s6, s8
.LBB65_24:                              ;   in Loop: Header=BB65_25 Depth=2
	s_or_b32 exec_lo, exec_lo, s7
	s_xor_b32 s7, s6, -1
	s_and_b32 s7, exec_lo, s7
	s_or_b32 s5, s7, s5
	s_andn2_b32 exec_lo, exec_lo, s5
	s_cbranch_execz .LBB65_21
.LBB65_25:                              ;   Parent Loop BB65_22 Depth=1
                                        ; =>  This Inner Loop Header: Depth=2
	v_lshl_add_u32 v8, v7, 3, 0
	s_andn2_b32 s6, s6, exec_lo
	s_mov_b32 s7, exec_lo
	ds_read_b64 v[5:6], v8
	s_waitcnt lgkmcnt(0)
	v_cmpx_ne_u64_e64 v[5:6], v[3:4]
	s_cbranch_execz .LBB65_24
; %bb.26:                               ;   in Loop: Header=BB65_25 Depth=2
	s_mov_b32 s8, exec_lo
	v_cmpx_ne_u64_e64 s[20:21], v[5:6]
	s_xor_b32 s8, exec_lo, s8
; %bb.27:                               ;   in Loop: Header=BB65_25 Depth=2
	v_add_nc_u32_e32 v5, 1, v7
                                        ; implicit-def: $vgpr8
	v_and_b32_e32 v7, 0x3fff, v5
; %bb.28:                               ;   in Loop: Header=BB65_25 Depth=2
	s_or_saveexec_b32 s8, s8
	s_mov_b32 s9, -1
	s_xor_b32 exec_lo, exec_lo, s8
	s_cbranch_execz .LBB65_23
; %bb.29:                               ;   in Loop: Header=BB65_25 Depth=2
	v_mov_b32_e32 v5, s20
	v_mov_b32_e32 v6, s21
	ds_cmpst_rtn_b64 v[5:6], v8, v[5:6], v[3:4]
	s_waitcnt lgkmcnt(0)
	v_cmp_ne_u64_e32 vcc_lo, s[20:21], v[5:6]
	s_orn2_b32 s9, vcc_lo, exec_lo
	s_branch .LBB65_23
.LBB65_30:
	s_or_b32 exec_lo, exec_lo, s3
.LBB65_31:
	v_mbcnt_lo_u32_b32 v1, -1, 0
	v_lshlrev_b32_e32 v3, 3, v13
	s_add_i32 s39, 0, 0x20078
	v_mov_b32_e32 v2, 0
	v_cmp_lt_u32_e64 s0, 63, v0
	v_xor_b32_e32 v1, 31, v1
	v_add3_u32 v9, 0x20000, 0, v3
	v_mov_b32_e32 v3, 0
	v_cmp_lt_u32_e64 s1, 0x7f, v0
	v_cmp_lt_u32_e64 s2, 0xbf, v0
	v_lshrrev_b32_e64 v10, v1, -1
	v_cmp_lt_u32_e64 s3, 0xff, v0
	v_cmp_lt_u32_e64 s4, 0x13f, v0
	v_cmp_lt_u32_e64 s5, 0x17f, v0
	v_cmp_lt_u32_e64 s6, 0x1bf, v0
	v_cmp_lt_u32_e64 s7, 0x1ff, v0
	v_cmp_lt_u32_e64 s8, 0x23f, v0
	v_cmp_lt_u32_e64 s9, 0x27f, v0
	v_cmp_lt_u32_e64 s10, 0x2bf, v0
	v_cmp_lt_u32_e64 s11, 0x2ff, v0
	v_cmp_lt_u32_e64 s12, 0x33f, v0
	v_cmp_lt_u32_e64 s13, 0x37f, v0
	v_cmp_lt_u32_e64 s14, 0x3bf, v0
	v_mov_b32_e32 v4, 0
	v_mov_b32_e32 v13, s39
	s_waitcnt lgkmcnt(0)
	s_mov_b32 s17, 0
	s_add_i32 s19, 0, 0x20000
	s_add_i32 s24, 0, 0x20008
	s_add_i32 s25, 0, 0x20010
	s_add_i32 s26, 0, 0x20018
	s_add_i32 s27, 0, 0x20020
	s_add_i32 s28, 0, 0x20028
	s_add_i32 s29, 0, 0x20030
	s_add_i32 s33, 0, 0x20038
	s_add_i32 s36, 0, 0x20040
	s_add_i32 s37, 0, 0x20048
	s_add_i32 s38, 0, 0x20050
	s_add_i32 s40, 0, 0x20058
	s_add_i32 s41, 0, 0x20060
	s_add_i32 s42, 0, 0x20068
	s_add_i32 s43, 0, 0x20070
	s_barrier
	v_cmp_eq_u32_e32 vcc_lo, 0x3ff, v0
	buffer_gl0_inv
	s_branch .LBB65_33
.LBB65_32:                              ;   in Loop: Header=BB65_33 Depth=1
	s_or_b32 exec_lo, exec_lo, s15
	s_waitcnt lgkmcnt(0)
	s_barrier
	buffer_gl0_inv
	ds_read_b64 v[5:6], v13
	v_add_nc_u32_e32 v12, 0x400, v12
	v_add_nc_u32_e32 v11, 0x2000, v11
	v_cmp_lt_u32_e64 s15, 0x3bff, v12
	s_or_b32 s17, s15, s17
	s_waitcnt lgkmcnt(0)
	v_add_co_u32 v3, s16, v5, v3
	v_add_co_ci_u32_e64 v4, null, v6, v4, s16
	s_andn2_b32 exec_lo, exec_lo, s17
	s_cbranch_execz .LBB65_67
.LBB65_33:                              ; =>This Inner Loop Header: Depth=1
	ds_read_b64 v[5:6], v11
	s_waitcnt lgkmcnt(0)
	s_barrier
	buffer_gl0_inv
	v_cmp_gt_i64_e64 s15, s[20:21], v[5:6]
	v_and_b32_e32 v7, s15, v10
	s_bcnt1_i32_b32 s16, s15
	v_mov_b32_e32 v1, s16
	v_bcnt_u32_b32 v7, v7, 0
	ds_write_b64 v9, v[1:2]
	s_waitcnt lgkmcnt(0)
	s_barrier
	buffer_gl0_inv
	s_and_saveexec_b32 s16, s0
	s_cbranch_execnz .LBB65_50
; %bb.34:                               ;   in Loop: Header=BB65_33 Depth=1
	s_or_b32 exec_lo, exec_lo, s16
	s_and_saveexec_b32 s16, s1
	s_cbranch_execnz .LBB65_51
.LBB65_35:                              ;   in Loop: Header=BB65_33 Depth=1
	s_or_b32 exec_lo, exec_lo, s16
	s_and_saveexec_b32 s16, s2
	s_cbranch_execnz .LBB65_52
.LBB65_36:                              ;   in Loop: Header=BB65_33 Depth=1
	s_or_b32 exec_lo, exec_lo, s16
	s_and_saveexec_b32 s16, s3
	s_cbranch_execnz .LBB65_53
.LBB65_37:                              ;   in Loop: Header=BB65_33 Depth=1
	s_or_b32 exec_lo, exec_lo, s16
	s_and_saveexec_b32 s16, s4
	s_cbranch_execnz .LBB65_54
.LBB65_38:                              ;   in Loop: Header=BB65_33 Depth=1
	s_or_b32 exec_lo, exec_lo, s16
	s_and_saveexec_b32 s16, s5
	s_cbranch_execnz .LBB65_55
.LBB65_39:                              ;   in Loop: Header=BB65_33 Depth=1
	s_or_b32 exec_lo, exec_lo, s16
	s_and_saveexec_b32 s16, s6
	s_cbranch_execnz .LBB65_56
.LBB65_40:                              ;   in Loop: Header=BB65_33 Depth=1
	s_or_b32 exec_lo, exec_lo, s16
	s_and_saveexec_b32 s16, s7
	s_cbranch_execnz .LBB65_57
.LBB65_41:                              ;   in Loop: Header=BB65_33 Depth=1
	s_or_b32 exec_lo, exec_lo, s16
	s_and_saveexec_b32 s16, s8
	s_cbranch_execnz .LBB65_58
.LBB65_42:                              ;   in Loop: Header=BB65_33 Depth=1
	s_or_b32 exec_lo, exec_lo, s16
	s_and_saveexec_b32 s16, s9
	s_cbranch_execnz .LBB65_59
.LBB65_43:                              ;   in Loop: Header=BB65_33 Depth=1
	s_or_b32 exec_lo, exec_lo, s16
	s_and_saveexec_b32 s16, s10
	s_cbranch_execnz .LBB65_60
.LBB65_44:                              ;   in Loop: Header=BB65_33 Depth=1
	s_or_b32 exec_lo, exec_lo, s16
	s_and_saveexec_b32 s16, s11
	s_cbranch_execnz .LBB65_61
.LBB65_45:                              ;   in Loop: Header=BB65_33 Depth=1
	s_or_b32 exec_lo, exec_lo, s16
	s_and_saveexec_b32 s16, s12
	s_cbranch_execnz .LBB65_62
.LBB65_46:                              ;   in Loop: Header=BB65_33 Depth=1
	s_or_b32 exec_lo, exec_lo, s16
	s_and_saveexec_b32 s16, s13
	s_cbranch_execnz .LBB65_63
.LBB65_47:                              ;   in Loop: Header=BB65_33 Depth=1
	s_or_b32 exec_lo, exec_lo, s16
	s_and_saveexec_b32 s16, s14
	s_cbranch_execnz .LBB65_64
.LBB65_48:                              ;   in Loop: Header=BB65_33 Depth=1
	s_or_b32 exec_lo, exec_lo, s16
	v_ashrrev_i32_e32 v8, 31, v7
	s_and_saveexec_b32 s16, s15
	s_cbranch_execnz .LBB65_65
.LBB65_49:                              ;   in Loop: Header=BB65_33 Depth=1
	s_or_b32 exec_lo, exec_lo, s16
	s_and_saveexec_b32 s15, vcc_lo
	s_cbranch_execz .LBB65_32
	s_branch .LBB65_66
.LBB65_50:                              ;   in Loop: Header=BB65_33 Depth=1
	v_mov_b32_e32 v1, s19
	ds_read_b32 v1, v1
	s_waitcnt lgkmcnt(0)
	v_add_nc_u32_e32 v7, v1, v7
	s_or_b32 exec_lo, exec_lo, s16
	s_and_saveexec_b32 s16, s1
	s_cbranch_execz .LBB65_35
.LBB65_51:                              ;   in Loop: Header=BB65_33 Depth=1
	v_mov_b32_e32 v1, s24
	ds_read_b32 v1, v1
	s_waitcnt lgkmcnt(0)
	v_add_nc_u32_e32 v7, v7, v1
	s_or_b32 exec_lo, exec_lo, s16
	s_and_saveexec_b32 s16, s2
	s_cbranch_execz .LBB65_36
.LBB65_52:                              ;   in Loop: Header=BB65_33 Depth=1
	v_mov_b32_e32 v1, s25
	ds_read_b32 v1, v1
	s_waitcnt lgkmcnt(0)
	v_add_nc_u32_e32 v7, v7, v1
	s_or_b32 exec_lo, exec_lo, s16
	s_and_saveexec_b32 s16, s3
	s_cbranch_execz .LBB65_37
.LBB65_53:                              ;   in Loop: Header=BB65_33 Depth=1
	v_mov_b32_e32 v1, s26
	ds_read_b32 v1, v1
	s_waitcnt lgkmcnt(0)
	v_add_nc_u32_e32 v7, v7, v1
	s_or_b32 exec_lo, exec_lo, s16
	s_and_saveexec_b32 s16, s4
	s_cbranch_execz .LBB65_38
.LBB65_54:                              ;   in Loop: Header=BB65_33 Depth=1
	v_mov_b32_e32 v1, s27
	ds_read_b32 v1, v1
	s_waitcnt lgkmcnt(0)
	v_add_nc_u32_e32 v7, v7, v1
	s_or_b32 exec_lo, exec_lo, s16
	s_and_saveexec_b32 s16, s5
	s_cbranch_execz .LBB65_39
.LBB65_55:                              ;   in Loop: Header=BB65_33 Depth=1
	v_mov_b32_e32 v1, s28
	ds_read_b32 v1, v1
	s_waitcnt lgkmcnt(0)
	v_add_nc_u32_e32 v7, v7, v1
	s_or_b32 exec_lo, exec_lo, s16
	s_and_saveexec_b32 s16, s6
	s_cbranch_execz .LBB65_40
.LBB65_56:                              ;   in Loop: Header=BB65_33 Depth=1
	v_mov_b32_e32 v1, s29
	ds_read_b32 v1, v1
	s_waitcnt lgkmcnt(0)
	v_add_nc_u32_e32 v7, v7, v1
	s_or_b32 exec_lo, exec_lo, s16
	s_and_saveexec_b32 s16, s7
	s_cbranch_execz .LBB65_41
.LBB65_57:                              ;   in Loop: Header=BB65_33 Depth=1
	v_mov_b32_e32 v1, s33
	ds_read_b32 v1, v1
	s_waitcnt lgkmcnt(0)
	v_add_nc_u32_e32 v7, v7, v1
	s_or_b32 exec_lo, exec_lo, s16
	s_and_saveexec_b32 s16, s8
	s_cbranch_execz .LBB65_42
.LBB65_58:                              ;   in Loop: Header=BB65_33 Depth=1
	v_mov_b32_e32 v1, s36
	ds_read_b32 v1, v1
	s_waitcnt lgkmcnt(0)
	v_add_nc_u32_e32 v7, v7, v1
	s_or_b32 exec_lo, exec_lo, s16
	s_and_saveexec_b32 s16, s9
	s_cbranch_execz .LBB65_43
.LBB65_59:                              ;   in Loop: Header=BB65_33 Depth=1
	v_mov_b32_e32 v1, s37
	ds_read_b32 v1, v1
	s_waitcnt lgkmcnt(0)
	v_add_nc_u32_e32 v7, v7, v1
	s_or_b32 exec_lo, exec_lo, s16
	s_and_saveexec_b32 s16, s10
	s_cbranch_execz .LBB65_44
.LBB65_60:                              ;   in Loop: Header=BB65_33 Depth=1
	v_mov_b32_e32 v1, s38
	ds_read_b32 v1, v1
	s_waitcnt lgkmcnt(0)
	v_add_nc_u32_e32 v7, v7, v1
	s_or_b32 exec_lo, exec_lo, s16
	s_and_saveexec_b32 s16, s11
	s_cbranch_execz .LBB65_45
.LBB65_61:                              ;   in Loop: Header=BB65_33 Depth=1
	v_mov_b32_e32 v1, s40
	ds_read_b32 v1, v1
	s_waitcnt lgkmcnt(0)
	v_add_nc_u32_e32 v7, v7, v1
	s_or_b32 exec_lo, exec_lo, s16
	s_and_saveexec_b32 s16, s12
	s_cbranch_execz .LBB65_46
.LBB65_62:                              ;   in Loop: Header=BB65_33 Depth=1
	v_mov_b32_e32 v1, s41
	ds_read_b32 v1, v1
	s_waitcnt lgkmcnt(0)
	v_add_nc_u32_e32 v7, v7, v1
	s_or_b32 exec_lo, exec_lo, s16
	s_and_saveexec_b32 s16, s13
	s_cbranch_execz .LBB65_47
.LBB65_63:                              ;   in Loop: Header=BB65_33 Depth=1
	v_mov_b32_e32 v1, s42
	ds_read_b32 v1, v1
	s_waitcnt lgkmcnt(0)
	v_add_nc_u32_e32 v7, v7, v1
	s_or_b32 exec_lo, exec_lo, s16
	s_and_saveexec_b32 s16, s14
	s_cbranch_execz .LBB65_48
.LBB65_64:                              ;   in Loop: Header=BB65_33 Depth=1
	v_mov_b32_e32 v1, s43
	ds_read_b32 v1, v1
	s_waitcnt lgkmcnt(0)
	v_add_nc_u32_e32 v7, v7, v1
	s_or_b32 exec_lo, exec_lo, s16
	v_ashrrev_i32_e32 v8, 31, v7
	s_and_saveexec_b32 s16, s15
	s_cbranch_execz .LBB65_49
.LBB65_65:                              ;   in Loop: Header=BB65_33 Depth=1
	v_lshlrev_b32_e32 v1, 3, v3
	v_lshlrev_b32_e32 v14, 3, v7
	v_add_nc_u32_e32 v1, 0, v1
	v_add3_u32 v1, v1, v14, -8
	ds_write_b64 v1, v[5:6]
	s_or_b32 exec_lo, exec_lo, s16
	s_and_saveexec_b32 s15, vcc_lo
	s_cbranch_execz .LBB65_32
.LBB65_66:                              ;   in Loop: Header=BB65_33 Depth=1
	v_mov_b32_e32 v1, s39
	ds_write_b64 v1, v[7:8]
	s_branch .LBB65_32
.LBB65_67:
	s_or_b32 exec_lo, exec_lo, s17
	s_lshl_b64 s[0:1], s[22:23], 3
	v_mov_b32_e32 v1, 0
	s_add_u32 s0, s30, s0
	s_addc_u32 s1, s31, s1
	s_mov_b32 s6, exec_lo
	s_load_dwordx4 s[0:3], s[0:1], 0x0
	s_waitcnt lgkmcnt(0)
	s_sub_u32 s4, s2, s0
	s_subb_u32 s5, s3, s1
	v_cmpx_gt_i64_e64 s[4:5], v[0:1]
	s_cbranch_execz .LBB65_77
; %bb.68:
	s_sub_u32 s8, s0, s18
	s_subb_u32 s9, s1, 0
	s_and_b32 s6, s4, 7
	s_sub_u32 s0, s0, s2
	s_subb_u32 s1, s1, s3
	s_mov_b32 s7, 0
	v_cmp_lt_u64_e64 s12, s[0:1], -7
	s_and_b32 s2, s4, -8
	s_cmp_lg_u64 s[6:7], 0
	s_mov_b32 s3, s5
	s_cselect_b32 s13, -1, 0
	s_mov_b32 s14, s7
	s_branch .LBB65_70
.LBB65_69:                              ;   in Loop: Header=BB65_70 Depth=1
	v_add_co_u32 v0, vcc_lo, 0x400, v0
	v_lshlrev_b64 v[4:5], 3, v[4:5]
	v_add_co_ci_u32_e64 v1, null, 0, v1, vcc_lo
	s_waitcnt lgkmcnt(0)
	v_add_co_u32 v2, vcc_lo, v2, s18
	v_add_co_ci_u32_e64 v3, null, 0, v3, vcc_lo
	v_cmp_le_i64_e32 vcc_lo, s[4:5], v[0:1]
	v_add_co_u32 v4, s0, s34, v4
	v_add_co_ci_u32_e64 v5, null, s35, v5, s0
	s_or_b32 s14, vcc_lo, s14
	global_store_dwordx2 v[4:5], v[2:3], off
	s_andn2_b32 exec_lo, exec_lo, s14
	s_cbranch_execz .LBB65_77
.LBB65_70:                              ; =>This Loop Header: Depth=1
                                        ;     Child Loop BB65_72 Depth 2
                                        ;     Child Loop BB65_76 Depth 2
	v_lshl_add_u32 v2, v0, 3, 0
	v_mov_b32_e32 v4, s8
	v_mov_b32_e32 v5, s9
	s_andn2_b32 vcc_lo, exec_lo, s12
	s_mov_b64 s[0:1], 0
	ds_read_b64 v[2:3], v2
	s_cbranch_vccnz .LBB65_74
; %bb.71:                               ;   in Loop: Header=BB65_70 Depth=1
	v_mov_b32_e32 v4, s8
	v_mov_b32_e32 v5, s9
	s_mov_b64 s[10:11], 0
	s_mov_b32 s1, 0
.LBB65_72:                              ;   Parent Loop BB65_70 Depth=1
                                        ; =>  This Inner Loop Header: Depth=2
	v_mov_b32_e32 v18, s1
	s_add_u32 s10, s10, 8
	s_addc_u32 s11, s11, 0
	s_add_i32 s1, s1, 64
	s_cmp_eq_u64 s[2:3], s[10:11]
	ds_read2_b64 v[6:9], v18 offset1:1
	ds_read2_b64 v[10:13], v18 offset0:2 offset1:3
	ds_read2_b64 v[14:17], v18 offset0:4 offset1:5
	;; [unrolled: 1-line block ×3, first 2 shown]
	s_waitcnt lgkmcnt(3)
	v_cmp_gt_i64_e32 vcc_lo, v[2:3], v[6:7]
	v_cndmask_b32_e64 v6, 0, 1, vcc_lo
	v_cmp_gt_i64_e32 vcc_lo, v[2:3], v[8:9]
	v_cndmask_b32_e64 v7, 0, 1, vcc_lo
	s_waitcnt lgkmcnt(2)
	v_cmp_gt_i64_e32 vcc_lo, v[2:3], v[10:11]
	v_cndmask_b32_e64 v8, 0, 1, vcc_lo
	v_cmp_gt_i64_e32 vcc_lo, v[2:3], v[12:13]
	v_cndmask_b32_e64 v9, 0, 1, vcc_lo
	s_waitcnt lgkmcnt(1)
	v_cmp_gt_i64_e32 vcc_lo, v[2:3], v[14:15]
	v_cndmask_b32_e64 v10, 0, 1, vcc_lo
	v_add_co_u32 v4, vcc_lo, v4, v6
	v_add_co_ci_u32_e64 v5, null, 0, v5, vcc_lo
	v_cmp_gt_i64_e32 vcc_lo, v[2:3], v[16:17]
	v_add_co_u32 v4, s0, v4, v7
	v_add_co_ci_u32_e64 v5, null, 0, v5, s0
	v_cndmask_b32_e64 v6, 0, 1, vcc_lo
	v_add_co_u32 v4, vcc_lo, v4, v8
	v_add_co_ci_u32_e64 v5, null, 0, v5, vcc_lo
	s_waitcnt lgkmcnt(0)
	v_cmp_gt_i64_e32 vcc_lo, v[2:3], v[18:19]
	v_add_co_u32 v4, s0, v4, v9
	v_add_co_ci_u32_e64 v5, null, 0, v5, s0
	v_cndmask_b32_e64 v7, 0, 1, vcc_lo
	v_add_co_u32 v4, vcc_lo, v4, v10
	v_add_co_ci_u32_e64 v5, null, 0, v5, vcc_lo
	v_cmp_gt_i64_e32 vcc_lo, v[2:3], v[20:21]
	v_add_co_u32 v4, s0, v4, v6
	v_add_co_ci_u32_e64 v5, null, 0, v5, s0
	v_cndmask_b32_e64 v6, 0, 1, vcc_lo
	v_add_co_u32 v4, vcc_lo, v4, v7
	v_add_co_ci_u32_e64 v5, null, 0, v5, vcc_lo
	v_add_co_u32 v4, vcc_lo, v4, v6
	v_add_co_ci_u32_e64 v5, null, 0, v5, vcc_lo
	s_cbranch_scc0 .LBB65_72
; %bb.73:                               ;   in Loop: Header=BB65_70 Depth=1
	s_mov_b64 s[0:1], s[2:3]
.LBB65_74:                              ;   in Loop: Header=BB65_70 Depth=1
	s_andn2_b32 vcc_lo, exec_lo, s13
	s_cbranch_vccnz .LBB65_69
; %bb.75:                               ;   in Loop: Header=BB65_70 Depth=1
	s_lshl_b32 s0, s0, 3
	s_add_i32 s10, s0, 0
	s_mov_b64 s[0:1], s[6:7]
.LBB65_76:                              ;   Parent Loop BB65_70 Depth=1
                                        ; =>  This Inner Loop Header: Depth=2
	v_mov_b32_e32 v6, s10
	s_add_i32 s10, s10, 8
	s_add_u32 s0, s0, -1
	s_addc_u32 s1, s1, -1
	s_cmp_lg_u64 s[0:1], 0
	ds_read_b64 v[6:7], v6
	s_waitcnt lgkmcnt(0)
	v_cmp_gt_i64_e32 vcc_lo, v[2:3], v[6:7]
	v_cndmask_b32_e64 v6, 0, 1, vcc_lo
	v_add_co_u32 v4, vcc_lo, v4, v6
	v_add_co_ci_u32_e64 v5, null, 0, v5, vcc_lo
	s_cbranch_scc1 .LBB65_76
	s_branch .LBB65_69
.LBB65_77:
	s_endpgm
	.section	.rodata,"a",@progbits
	.p2align	6, 0x0
	.amdhsa_kernel _ZN9rocsparseL35csrgemm_symbolic_fill_block_per_rowILj1024ELj64ELj16384ELj137ELj64EllEEvT5_PKS1_S3_PKT4_S3_S6_S3_S6_S3_S6_PS1_21rocsparse_index_base_S8_S8_S8_bb
		.amdhsa_group_segment_fixed_size 0
		.amdhsa_private_segment_fixed_size 0
		.amdhsa_kernarg_size 108
		.amdhsa_user_sgpr_count 6
		.amdhsa_user_sgpr_private_segment_buffer 1
		.amdhsa_user_sgpr_dispatch_ptr 0
		.amdhsa_user_sgpr_queue_ptr 0
		.amdhsa_user_sgpr_kernarg_segment_ptr 1
		.amdhsa_user_sgpr_dispatch_id 0
		.amdhsa_user_sgpr_flat_scratch_init 0
		.amdhsa_user_sgpr_private_segment_size 0
		.amdhsa_wavefront_size32 1
		.amdhsa_uses_dynamic_stack 0
		.amdhsa_system_sgpr_private_segment_wavefront_offset 0
		.amdhsa_system_sgpr_workgroup_id_x 1
		.amdhsa_system_sgpr_workgroup_id_y 0
		.amdhsa_system_sgpr_workgroup_id_z 0
		.amdhsa_system_sgpr_workgroup_info 0
		.amdhsa_system_vgpr_workitem_id 0
		.amdhsa_next_free_vgpr 22
		.amdhsa_next_free_sgpr 44
		.amdhsa_reserve_vcc 1
		.amdhsa_reserve_flat_scratch 0
		.amdhsa_float_round_mode_32 0
		.amdhsa_float_round_mode_16_64 0
		.amdhsa_float_denorm_mode_32 3
		.amdhsa_float_denorm_mode_16_64 3
		.amdhsa_dx10_clamp 1
		.amdhsa_ieee_mode 1
		.amdhsa_fp16_overflow 0
		.amdhsa_workgroup_processor_mode 1
		.amdhsa_memory_ordered 1
		.amdhsa_forward_progress 1
		.amdhsa_shared_vgpr_count 0
		.amdhsa_exception_fp_ieee_invalid_op 0
		.amdhsa_exception_fp_denorm_src 0
		.amdhsa_exception_fp_ieee_div_zero 0
		.amdhsa_exception_fp_ieee_overflow 0
		.amdhsa_exception_fp_ieee_underflow 0
		.amdhsa_exception_fp_ieee_inexact 0
		.amdhsa_exception_int_div_zero 0
	.end_amdhsa_kernel
	.section	.text._ZN9rocsparseL35csrgemm_symbolic_fill_block_per_rowILj1024ELj64ELj16384ELj137ELj64EllEEvT5_PKS1_S3_PKT4_S3_S6_S3_S6_S3_S6_PS1_21rocsparse_index_base_S8_S8_S8_bb,"axG",@progbits,_ZN9rocsparseL35csrgemm_symbolic_fill_block_per_rowILj1024ELj64ELj16384ELj137ELj64EllEEvT5_PKS1_S3_PKT4_S3_S6_S3_S6_S3_S6_PS1_21rocsparse_index_base_S8_S8_S8_bb,comdat
.Lfunc_end65:
	.size	_ZN9rocsparseL35csrgemm_symbolic_fill_block_per_rowILj1024ELj64ELj16384ELj137ELj64EllEEvT5_PKS1_S3_PKT4_S3_S6_S3_S6_S3_S6_PS1_21rocsparse_index_base_S8_S8_S8_bb, .Lfunc_end65-_ZN9rocsparseL35csrgemm_symbolic_fill_block_per_rowILj1024ELj64ELj16384ELj137ELj64EllEEvT5_PKS1_S3_PKT4_S3_S6_S3_S6_S3_S6_PS1_21rocsparse_index_base_S8_S8_S8_bb
                                        ; -- End function
	.set _ZN9rocsparseL35csrgemm_symbolic_fill_block_per_rowILj1024ELj64ELj16384ELj137ELj64EllEEvT5_PKS1_S3_PKT4_S3_S6_S3_S6_S3_S6_PS1_21rocsparse_index_base_S8_S8_S8_bb.num_vgpr, 22
	.set _ZN9rocsparseL35csrgemm_symbolic_fill_block_per_rowILj1024ELj64ELj16384ELj137ELj64EllEEvT5_PKS1_S3_PKT4_S3_S6_S3_S6_S3_S6_PS1_21rocsparse_index_base_S8_S8_S8_bb.num_agpr, 0
	.set _ZN9rocsparseL35csrgemm_symbolic_fill_block_per_rowILj1024ELj64ELj16384ELj137ELj64EllEEvT5_PKS1_S3_PKT4_S3_S6_S3_S6_S3_S6_PS1_21rocsparse_index_base_S8_S8_S8_bb.numbered_sgpr, 44
	.set _ZN9rocsparseL35csrgemm_symbolic_fill_block_per_rowILj1024ELj64ELj16384ELj137ELj64EllEEvT5_PKS1_S3_PKT4_S3_S6_S3_S6_S3_S6_PS1_21rocsparse_index_base_S8_S8_S8_bb.num_named_barrier, 0
	.set _ZN9rocsparseL35csrgemm_symbolic_fill_block_per_rowILj1024ELj64ELj16384ELj137ELj64EllEEvT5_PKS1_S3_PKT4_S3_S6_S3_S6_S3_S6_PS1_21rocsparse_index_base_S8_S8_S8_bb.private_seg_size, 0
	.set _ZN9rocsparseL35csrgemm_symbolic_fill_block_per_rowILj1024ELj64ELj16384ELj137ELj64EllEEvT5_PKS1_S3_PKT4_S3_S6_S3_S6_S3_S6_PS1_21rocsparse_index_base_S8_S8_S8_bb.uses_vcc, 1
	.set _ZN9rocsparseL35csrgemm_symbolic_fill_block_per_rowILj1024ELj64ELj16384ELj137ELj64EllEEvT5_PKS1_S3_PKT4_S3_S6_S3_S6_S3_S6_PS1_21rocsparse_index_base_S8_S8_S8_bb.uses_flat_scratch, 0
	.set _ZN9rocsparseL35csrgemm_symbolic_fill_block_per_rowILj1024ELj64ELj16384ELj137ELj64EllEEvT5_PKS1_S3_PKT4_S3_S6_S3_S6_S3_S6_PS1_21rocsparse_index_base_S8_S8_S8_bb.has_dyn_sized_stack, 0
	.set _ZN9rocsparseL35csrgemm_symbolic_fill_block_per_rowILj1024ELj64ELj16384ELj137ELj64EllEEvT5_PKS1_S3_PKT4_S3_S6_S3_S6_S3_S6_PS1_21rocsparse_index_base_S8_S8_S8_bb.has_recursion, 0
	.set _ZN9rocsparseL35csrgemm_symbolic_fill_block_per_rowILj1024ELj64ELj16384ELj137ELj64EllEEvT5_PKS1_S3_PKT4_S3_S6_S3_S6_S3_S6_PS1_21rocsparse_index_base_S8_S8_S8_bb.has_indirect_call, 0
	.section	.AMDGPU.csdata,"",@progbits
; Kernel info:
; codeLenInByte = 3256
; TotalNumSgprs: 46
; NumVgprs: 22
; ScratchSize: 0
; MemoryBound: 0
; FloatMode: 240
; IeeeMode: 1
; LDSByteSize: 0 bytes/workgroup (compile time only)
; SGPRBlocks: 0
; VGPRBlocks: 2
; NumSGPRsForWavesPerEU: 46
; NumVGPRsForWavesPerEU: 22
; Occupancy: 16
; WaveLimiterHint : 1
; COMPUTE_PGM_RSRC2:SCRATCH_EN: 0
; COMPUTE_PGM_RSRC2:USER_SGPR: 6
; COMPUTE_PGM_RSRC2:TRAP_HANDLER: 0
; COMPUTE_PGM_RSRC2:TGID_X_EN: 1
; COMPUTE_PGM_RSRC2:TGID_Y_EN: 0
; COMPUTE_PGM_RSRC2:TGID_Z_EN: 0
; COMPUTE_PGM_RSRC2:TIDIG_COMP_CNT: 0
	.section	.text._ZN9rocsparseL35csrgemm_symbolic_fill_block_per_rowILj1024ELj64ELj32768ELj137ELj32EllEEvT5_PKS1_S3_PKT4_S3_S6_S3_S6_S3_S6_PS1_21rocsparse_index_base_S8_S8_S8_bb,"axG",@progbits,_ZN9rocsparseL35csrgemm_symbolic_fill_block_per_rowILj1024ELj64ELj32768ELj137ELj32EllEEvT5_PKS1_S3_PKT4_S3_S6_S3_S6_S3_S6_PS1_21rocsparse_index_base_S8_S8_S8_bb,comdat
	.globl	_ZN9rocsparseL35csrgemm_symbolic_fill_block_per_rowILj1024ELj64ELj32768ELj137ELj32EllEEvT5_PKS1_S3_PKT4_S3_S6_S3_S6_S3_S6_PS1_21rocsparse_index_base_S8_S8_S8_bb ; -- Begin function _ZN9rocsparseL35csrgemm_symbolic_fill_block_per_rowILj1024ELj64ELj32768ELj137ELj32EllEEvT5_PKS1_S3_PKT4_S3_S6_S3_S6_S3_S6_PS1_21rocsparse_index_base_S8_S8_S8_bb
	.p2align	8
	.type	_ZN9rocsparseL35csrgemm_symbolic_fill_block_per_rowILj1024ELj64ELj32768ELj137ELj32EllEEvT5_PKS1_S3_PKT4_S3_S6_S3_S6_S3_S6_PS1_21rocsparse_index_base_S8_S8_S8_bb,@function
_ZN9rocsparseL35csrgemm_symbolic_fill_block_per_rowILj1024ELj64ELj32768ELj137ELj32EllEEvT5_PKS1_S3_PKT4_S3_S6_S3_S6_S3_S6_PS1_21rocsparse_index_base_S8_S8_S8_bb: ; @_ZN9rocsparseL35csrgemm_symbolic_fill_block_per_rowILj1024ELj64ELj32768ELj137ELj32EllEEvT5_PKS1_S3_PKT4_S3_S6_S3_S6_S3_S6_PS1_21rocsparse_index_base_S8_S8_S8_bb
; %bb.0:
	s_clause 0x3
	s_load_dwordx8 s[36:43], s[4:5], 0x0
	s_load_dwordx2 s[34:35], s[4:5], 0x50
	s_load_dwordx4 s[48:51], s[4:5], 0x40
	s_load_dwordx8 s[8:15], s[4:5], 0x20
	v_lshl_add_u32 v11, v0, 3, 0
	v_or_b32_e32 v12, 0xfffffc00, v0
	s_mov_b32 s0, 0
	v_mov_b32_e32 v3, v11
	v_mov_b32_e32 v4, v12
	s_waitcnt lgkmcnt(0)
	v_mov_b32_e32 v1, s36
	v_mov_b32_e32 v2, s37
.LBB66_1:                               ; =>This Inner Loop Header: Depth=1
	v_add_nc_u32_e32 v4, 0x400, v4
	ds_write_b64 v3, v[1:2]
	v_add_nc_u32_e32 v3, 0x2000, v3
	v_cmp_lt_u32_e32 vcc_lo, 0x7bff, v4
	s_or_b32 s0, vcc_lo, s0
	s_andn2_b32 exec_lo, exec_lo, s0
	s_cbranch_execnz .LBB66_1
; %bb.2:
	s_or_b32 exec_lo, exec_lo, s0
	s_load_dword s2, s[4:5], 0x68
	s_waitcnt lgkmcnt(0)
	s_barrier
	buffer_gl0_inv
	s_load_dwordx2 s[0:1], s[38:39], 0x0
	s_mov_b32 s7, 0
	s_bitcmp1_b32 s2, 0
	s_cselect_b32 s3, -1, 0
	s_waitcnt lgkmcnt(0)
	s_lshl_b64 s[0:1], s[0:1], 3
	s_add_u32 s16, s40, s0
	s_addc_u32 s17, s41, s1
	s_lshl_b64 s[0:1], s[6:7], 3
	s_add_u32 s0, s16, s0
	s_addc_u32 s1, s17, s1
	s_load_dwordx4 s[44:47], s[4:5], 0x58
	s_load_dwordx2 s[38:39], s[0:1], 0x0
	s_and_b32 vcc_lo, exec_lo, s3
	s_cbranch_vccz .LBB66_18
; %bb.3:
	s_waitcnt lgkmcnt(0)
	s_lshl_b64 s[0:1], s[38:39], 3
	v_lshrrev_b32_e32 v1, 6, v0
	s_add_u32 s0, s42, s0
	s_addc_u32 s1, s43, s1
	s_mov_b32 s3, exec_lo
	s_load_dwordx4 s[4:7], s[0:1], 0x0
	v_sub_co_u32 v1, s0, v1, s44
	v_sub_co_ci_u32_e64 v2, null, 0, 0, s0
	s_waitcnt lgkmcnt(0)
	v_add_co_u32 v1, vcc_lo, s4, v1
	v_add_co_ci_u32_e64 v2, null, s5, v2, vcc_lo
	s_sub_u32 s0, s6, s44
	s_subb_u32 s1, s7, 0
	v_cmpx_gt_i64_e64 s[0:1], v[1:2]
	s_cbranch_execz .LBB66_17
; %bb.4:
	v_and_b32_e32 v3, 63, v0
	s_mov_b32 s5, s45
	v_sub_co_u32 v13, s4, v3, s45
	v_sub_co_ci_u32_e64 v14, null, 0, 0, s4
	s_mov_b32 s4, 0
	s_branch .LBB66_6
.LBB66_5:                               ;   in Loop: Header=BB66_6 Depth=1
	s_or_b32 exec_lo, exec_lo, s6
	v_add_co_u32 v1, vcc_lo, v1, 16
	v_add_co_ci_u32_e64 v2, null, 0, v2, vcc_lo
	v_cmp_le_i64_e32 vcc_lo, s[0:1], v[1:2]
	s_or_b32 s4, vcc_lo, s4
	s_andn2_b32 exec_lo, exec_lo, s4
	s_cbranch_execz .LBB66_17
.LBB66_6:                               ; =>This Loop Header: Depth=1
                                        ;     Child Loop BB66_9 Depth 2
                                        ;       Child Loop BB66_12 Depth 3
	v_lshlrev_b64 v[3:4], 3, v[1:2]
	s_mov_b32 s6, exec_lo
	v_add_co_u32 v3, vcc_lo, s8, v3
	v_add_co_ci_u32_e64 v4, null, s9, v4, vcc_lo
	global_load_dwordx2 v[3:4], v[3:4], off
	s_waitcnt vmcnt(0)
	v_sub_co_u32 v3, vcc_lo, v3, s44
	v_subrev_co_ci_u32_e64 v4, null, 0, v4, vcc_lo
	v_lshlrev_b64 v[3:4], 3, v[3:4]
	v_add_co_u32 v3, vcc_lo, s10, v3
	v_add_co_ci_u32_e64 v4, null, s11, v4, vcc_lo
	global_load_dwordx4 v[5:8], v[3:4], off
	s_waitcnt vmcnt(0)
	v_sub_co_u32 v3, vcc_lo, v7, s5
	v_subrev_co_ci_u32_e64 v4, null, 0, v8, vcc_lo
	v_add_co_u32 v5, vcc_lo, v5, v13
	v_add_co_ci_u32_e64 v6, null, v6, v14, vcc_lo
	v_cmpx_lt_i64_e64 v[5:6], v[3:4]
	s_cbranch_execz .LBB66_5
; %bb.7:                                ;   in Loop: Header=BB66_6 Depth=1
	s_mov_b32 s7, 0
	s_branch .LBB66_9
.LBB66_8:                               ;   in Loop: Header=BB66_9 Depth=2
	s_inst_prefetch 0x2
	s_or_b32 exec_lo, exec_lo, s16
	v_add_co_u32 v5, vcc_lo, v5, 64
	v_add_co_ci_u32_e64 v6, null, 0, v6, vcc_lo
	v_cmp_ge_i64_e32 vcc_lo, v[5:6], v[3:4]
	s_or_b32 s7, vcc_lo, s7
	s_andn2_b32 exec_lo, exec_lo, s7
	s_cbranch_execz .LBB66_5
.LBB66_9:                               ;   Parent Loop BB66_6 Depth=1
                                        ; =>  This Loop Header: Depth=2
                                        ;       Child Loop BB66_12 Depth 3
	v_lshlrev_b64 v[7:8], 3, v[5:6]
	s_mov_b32 s16, 0
                                        ; implicit-def: $sgpr17
	v_add_co_u32 v7, vcc_lo, s12, v7
	v_add_co_ci_u32_e64 v8, null, s13, v8, vcc_lo
	global_load_dwordx2 v[7:8], v[7:8], off
	s_waitcnt vmcnt(0)
	v_sub_co_u32 v7, vcc_lo, v7, s5
	v_subrev_co_ci_u32_e64 v8, null, 0, v8, vcc_lo
	v_mul_lo_u32 v9, 0x89, v7
	v_and_b32_e32 v15, 0x7fff, v9
	s_inst_prefetch 0x1
	s_branch .LBB66_12
	.p2align	6
.LBB66_10:                              ;   in Loop: Header=BB66_12 Depth=3
	s_or_b32 exec_lo, exec_lo, s19
	s_andn2_b32 s17, s17, exec_lo
	s_and_b32 s19, s20, exec_lo
	s_or_b32 s17, s17, s19
.LBB66_11:                              ;   in Loop: Header=BB66_12 Depth=3
	s_or_b32 exec_lo, exec_lo, s18
	s_xor_b32 s18, s17, -1
	s_and_b32 s18, exec_lo, s18
	s_or_b32 s16, s18, s16
	s_andn2_b32 exec_lo, exec_lo, s16
	s_cbranch_execz .LBB66_8
.LBB66_12:                              ;   Parent Loop BB66_6 Depth=1
                                        ;     Parent Loop BB66_9 Depth=2
                                        ; =>    This Inner Loop Header: Depth=3
	v_lshl_add_u32 v16, v15, 3, 0
	s_andn2_b32 s17, s17, exec_lo
	s_mov_b32 s18, exec_lo
	ds_read_b64 v[9:10], v16
	s_waitcnt lgkmcnt(0)
	v_cmpx_ne_u64_e64 v[9:10], v[7:8]
	s_cbranch_execz .LBB66_11
; %bb.13:                               ;   in Loop: Header=BB66_12 Depth=3
	s_mov_b32 s19, exec_lo
	v_cmpx_ne_u64_e64 s[36:37], v[9:10]
	s_xor_b32 s19, exec_lo, s19
; %bb.14:                               ;   in Loop: Header=BB66_12 Depth=3
	v_add_nc_u32_e32 v9, 1, v15
                                        ; implicit-def: $vgpr16
	v_and_b32_e32 v15, 0x7fff, v9
; %bb.15:                               ;   in Loop: Header=BB66_12 Depth=3
	s_or_saveexec_b32 s19, s19
	s_mov_b32 s20, -1
	s_xor_b32 exec_lo, exec_lo, s19
	s_cbranch_execz .LBB66_10
; %bb.16:                               ;   in Loop: Header=BB66_12 Depth=3
	v_mov_b32_e32 v9, s36
	v_mov_b32_e32 v10, s37
	ds_cmpst_rtn_b64 v[9:10], v16, v[9:10], v[7:8]
	s_waitcnt lgkmcnt(0)
	v_cmp_ne_u64_e32 vcc_lo, s[36:37], v[9:10]
	s_orn2_b32 s20, vcc_lo, exec_lo
	s_branch .LBB66_10
.LBB66_17:
	s_or_b32 exec_lo, exec_lo, s3
.LBB66_18:
	s_bfe_u32 s0, s2, 0x10008
	s_cmp_eq_u32 s0, 0
	s_cbranch_scc1 .LBB66_31
; %bb.19:
	s_waitcnt lgkmcnt(0)
	s_lshl_b64 s[0:1], s[38:39], 3
	v_sub_co_u32 v1, s4, v0, s47
	s_add_u32 s0, s14, s0
	s_addc_u32 s1, s15, s1
	v_sub_co_ci_u32_e64 v2, null, 0, 0, s4
	s_load_dwordx4 s[0:3], s[0:1], 0x0
	s_waitcnt lgkmcnt(0)
	v_add_co_u32 v1, vcc_lo, s0, v1
	v_add_co_ci_u32_e64 v2, null, s1, v2, vcc_lo
	s_sub_u32 s0, s2, s47
	s_subb_u32 s1, s3, 0
	s_mov_b32 s2, 0
	s_mov_b32 s3, exec_lo
	v_cmpx_gt_i64_e64 s[0:1], v[1:2]
	s_cbranch_execz .LBB66_30
; %bb.20:
	s_mov_b32 s4, s47
	s_branch .LBB66_22
.LBB66_21:                              ;   in Loop: Header=BB66_22 Depth=1
	s_inst_prefetch 0x2
	s_or_b32 exec_lo, exec_lo, s5
	v_add_co_u32 v1, vcc_lo, 0x400, v1
	v_add_co_ci_u32_e64 v2, null, 0, v2, vcc_lo
	v_cmp_le_i64_e32 vcc_lo, s[0:1], v[1:2]
	s_or_b32 s2, vcc_lo, s2
	s_andn2_b32 exec_lo, exec_lo, s2
	s_cbranch_execz .LBB66_30
.LBB66_22:                              ; =>This Loop Header: Depth=1
                                        ;     Child Loop BB66_25 Depth 2
	v_lshlrev_b64 v[3:4], 3, v[1:2]
	s_mov_b32 s5, 0
                                        ; implicit-def: $sgpr6
	v_add_co_u32 v3, vcc_lo, s48, v3
	v_add_co_ci_u32_e64 v4, null, s49, v4, vcc_lo
	global_load_dwordx2 v[3:4], v[3:4], off
	s_waitcnt vmcnt(0)
	v_sub_co_u32 v3, vcc_lo, v3, s4
	v_subrev_co_ci_u32_e64 v4, null, 0, v4, vcc_lo
	v_mul_lo_u32 v5, 0x89, v3
	v_and_b32_e32 v7, 0x7fff, v5
	s_inst_prefetch 0x1
	s_branch .LBB66_25
	.p2align	6
.LBB66_23:                              ;   in Loop: Header=BB66_25 Depth=2
	s_or_b32 exec_lo, exec_lo, s8
	s_andn2_b32 s6, s6, exec_lo
	s_and_b32 s8, s9, exec_lo
	s_or_b32 s6, s6, s8
.LBB66_24:                              ;   in Loop: Header=BB66_25 Depth=2
	s_or_b32 exec_lo, exec_lo, s7
	s_xor_b32 s7, s6, -1
	s_and_b32 s7, exec_lo, s7
	s_or_b32 s5, s7, s5
	s_andn2_b32 exec_lo, exec_lo, s5
	s_cbranch_execz .LBB66_21
.LBB66_25:                              ;   Parent Loop BB66_22 Depth=1
                                        ; =>  This Inner Loop Header: Depth=2
	v_lshl_add_u32 v8, v7, 3, 0
	s_andn2_b32 s6, s6, exec_lo
	s_mov_b32 s7, exec_lo
	ds_read_b64 v[5:6], v8
	s_waitcnt lgkmcnt(0)
	v_cmpx_ne_u64_e64 v[5:6], v[3:4]
	s_cbranch_execz .LBB66_24
; %bb.26:                               ;   in Loop: Header=BB66_25 Depth=2
	s_mov_b32 s8, exec_lo
	v_cmpx_ne_u64_e64 s[36:37], v[5:6]
	s_xor_b32 s8, exec_lo, s8
; %bb.27:                               ;   in Loop: Header=BB66_25 Depth=2
	v_add_nc_u32_e32 v5, 1, v7
                                        ; implicit-def: $vgpr8
	v_and_b32_e32 v7, 0x7fff, v5
; %bb.28:                               ;   in Loop: Header=BB66_25 Depth=2
	s_or_saveexec_b32 s8, s8
	s_mov_b32 s9, -1
	s_xor_b32 exec_lo, exec_lo, s8
	s_cbranch_execz .LBB66_23
; %bb.29:                               ;   in Loop: Header=BB66_25 Depth=2
	v_mov_b32_e32 v5, s36
	v_mov_b32_e32 v6, s37
	ds_cmpst_rtn_b64 v[5:6], v8, v[5:6], v[3:4]
	s_waitcnt lgkmcnt(0)
	v_cmp_ne_u64_e32 vcc_lo, s[36:37], v[5:6]
	s_orn2_b32 s9, vcc_lo, exec_lo
	s_branch .LBB66_23
.LBB66_30:
	s_or_b32 exec_lo, exec_lo, s3
.LBB66_31:
	v_lshrrev_b32_e32 v2, 2, v0
	v_mbcnt_lo_u32_b32 v1, -1, 0
	v_cmp_lt_u32_e64 s0, 31, v0
	v_cmp_lt_u32_e64 s1, 63, v0
	;; [unrolled: 1-line block ×3, first 2 shown]
	v_and_b32_e32 v3, 0xf8, v2
	v_xor_b32_e32 v1, 31, v1
	v_mov_b32_e32 v2, 0
	v_cmp_lt_u32_e64 s3, 0x7f, v0
	v_cmp_lt_u32_e64 s4, 0x9f, v0
	v_add3_u32 v10, 0x40000, 0, v3
	v_mov_b32_e32 v3, 0
	v_lshrrev_b32_e64 v9, v1, -1
	v_cmp_lt_u32_e64 s5, 0xbf, v0
	v_cmp_lt_u32_e64 s6, 0xdf, v0
	;; [unrolled: 1-line block ×26, first 2 shown]
	v_mov_b32_e32 v4, 0
	s_mov_b32 s40, 0
	s_add_i32 s41, 0, 0x40000
	s_add_i32 s42, 0, 0x40008
	;; [unrolled: 1-line block ×3, first 2 shown]
	s_waitcnt lgkmcnt(0)
	s_add_i32 s44, 0, 0x40018
	s_add_i32 s45, 0, 0x40020
	;; [unrolled: 1-line block ×29, first 2 shown]
	s_barrier
	v_cmp_eq_u32_e32 vcc_lo, 0x3ff, v0
	buffer_gl0_inv
	s_branch .LBB66_33
.LBB66_32:                              ;   in Loop: Header=BB66_33 Depth=1
	s_or_b32 exec_lo, exec_lo, s31
	v_mov_b32_e32 v1, s75
	s_waitcnt lgkmcnt(0)
	s_barrier
	buffer_gl0_inv
	v_add_nc_u32_e32 v12, 0x400, v12
	ds_read_b64 v[5:6], v1
	v_add_nc_u32_e32 v11, 0x2000, v11
	v_cmp_lt_u32_e64 s31, 0x7bff, v12
	s_or_b32 s40, s31, s40
	s_waitcnt lgkmcnt(0)
	v_add_co_u32 v3, s33, v5, v3
	v_add_co_ci_u32_e64 v4, null, v6, v4, s33
	s_andn2_b32 exec_lo, exec_lo, s40
	s_cbranch_execz .LBB66_99
.LBB66_33:                              ; =>This Inner Loop Header: Depth=1
	ds_read_b64 v[5:6], v11
	s_waitcnt lgkmcnt(0)
	s_barrier
	buffer_gl0_inv
	v_cmp_gt_i64_e64 s31, s[36:37], v[5:6]
	v_and_b32_e32 v7, s31, v9
	s_bcnt1_i32_b32 s33, s31
	v_mov_b32_e32 v1, s33
	v_bcnt_u32_b32 v7, v7, 0
	ds_write_b64 v10, v[1:2]
	s_waitcnt lgkmcnt(0)
	s_barrier
	buffer_gl0_inv
	s_and_saveexec_b32 s33, s0
	s_cbranch_execnz .LBB66_66
; %bb.34:                               ;   in Loop: Header=BB66_33 Depth=1
	s_or_b32 exec_lo, exec_lo, s33
	s_and_saveexec_b32 s33, s1
	s_cbranch_execnz .LBB66_67
.LBB66_35:                              ;   in Loop: Header=BB66_33 Depth=1
	s_or_b32 exec_lo, exec_lo, s33
	s_and_saveexec_b32 s33, s2
	s_cbranch_execnz .LBB66_68
.LBB66_36:                              ;   in Loop: Header=BB66_33 Depth=1
	s_or_b32 exec_lo, exec_lo, s33
	s_and_saveexec_b32 s33, s3
	s_cbranch_execnz .LBB66_69
.LBB66_37:                              ;   in Loop: Header=BB66_33 Depth=1
	s_or_b32 exec_lo, exec_lo, s33
	s_and_saveexec_b32 s33, s4
	s_cbranch_execnz .LBB66_70
.LBB66_38:                              ;   in Loop: Header=BB66_33 Depth=1
	s_or_b32 exec_lo, exec_lo, s33
	s_and_saveexec_b32 s33, s5
	s_cbranch_execnz .LBB66_71
.LBB66_39:                              ;   in Loop: Header=BB66_33 Depth=1
	s_or_b32 exec_lo, exec_lo, s33
	s_and_saveexec_b32 s33, s6
	s_cbranch_execnz .LBB66_72
.LBB66_40:                              ;   in Loop: Header=BB66_33 Depth=1
	s_or_b32 exec_lo, exec_lo, s33
	s_and_saveexec_b32 s33, s7
	s_cbranch_execnz .LBB66_73
.LBB66_41:                              ;   in Loop: Header=BB66_33 Depth=1
	s_or_b32 exec_lo, exec_lo, s33
	s_and_saveexec_b32 s33, s8
	s_cbranch_execnz .LBB66_74
.LBB66_42:                              ;   in Loop: Header=BB66_33 Depth=1
	s_or_b32 exec_lo, exec_lo, s33
	s_and_saveexec_b32 s33, s9
	s_cbranch_execnz .LBB66_75
.LBB66_43:                              ;   in Loop: Header=BB66_33 Depth=1
	s_or_b32 exec_lo, exec_lo, s33
	s_and_saveexec_b32 s33, s10
	s_cbranch_execnz .LBB66_76
.LBB66_44:                              ;   in Loop: Header=BB66_33 Depth=1
	s_or_b32 exec_lo, exec_lo, s33
	s_and_saveexec_b32 s33, s11
	s_cbranch_execnz .LBB66_77
.LBB66_45:                              ;   in Loop: Header=BB66_33 Depth=1
	s_or_b32 exec_lo, exec_lo, s33
	s_and_saveexec_b32 s33, s12
	s_cbranch_execnz .LBB66_78
.LBB66_46:                              ;   in Loop: Header=BB66_33 Depth=1
	s_or_b32 exec_lo, exec_lo, s33
	s_and_saveexec_b32 s33, s13
	s_cbranch_execnz .LBB66_79
.LBB66_47:                              ;   in Loop: Header=BB66_33 Depth=1
	s_or_b32 exec_lo, exec_lo, s33
	s_and_saveexec_b32 s33, s14
	s_cbranch_execnz .LBB66_80
.LBB66_48:                              ;   in Loop: Header=BB66_33 Depth=1
	s_or_b32 exec_lo, exec_lo, s33
	s_and_saveexec_b32 s33, s15
	s_cbranch_execnz .LBB66_81
.LBB66_49:                              ;   in Loop: Header=BB66_33 Depth=1
	s_or_b32 exec_lo, exec_lo, s33
	s_and_saveexec_b32 s33, s16
	s_cbranch_execnz .LBB66_82
.LBB66_50:                              ;   in Loop: Header=BB66_33 Depth=1
	s_or_b32 exec_lo, exec_lo, s33
	s_and_saveexec_b32 s33, s17
	s_cbranch_execnz .LBB66_83
.LBB66_51:                              ;   in Loop: Header=BB66_33 Depth=1
	s_or_b32 exec_lo, exec_lo, s33
	s_and_saveexec_b32 s33, s18
	s_cbranch_execnz .LBB66_84
.LBB66_52:                              ;   in Loop: Header=BB66_33 Depth=1
	s_or_b32 exec_lo, exec_lo, s33
	s_and_saveexec_b32 s33, s19
	s_cbranch_execnz .LBB66_85
.LBB66_53:                              ;   in Loop: Header=BB66_33 Depth=1
	s_or_b32 exec_lo, exec_lo, s33
	s_and_saveexec_b32 s33, s20
	s_cbranch_execnz .LBB66_86
.LBB66_54:                              ;   in Loop: Header=BB66_33 Depth=1
	s_or_b32 exec_lo, exec_lo, s33
	s_and_saveexec_b32 s33, s21
	s_cbranch_execnz .LBB66_87
.LBB66_55:                              ;   in Loop: Header=BB66_33 Depth=1
	s_or_b32 exec_lo, exec_lo, s33
	s_and_saveexec_b32 s33, s22
	s_cbranch_execnz .LBB66_88
.LBB66_56:                              ;   in Loop: Header=BB66_33 Depth=1
	s_or_b32 exec_lo, exec_lo, s33
	s_and_saveexec_b32 s33, s23
	s_cbranch_execnz .LBB66_89
.LBB66_57:                              ;   in Loop: Header=BB66_33 Depth=1
	s_or_b32 exec_lo, exec_lo, s33
	s_and_saveexec_b32 s33, s24
	s_cbranch_execnz .LBB66_90
.LBB66_58:                              ;   in Loop: Header=BB66_33 Depth=1
	s_or_b32 exec_lo, exec_lo, s33
	s_and_saveexec_b32 s33, s25
	s_cbranch_execnz .LBB66_91
.LBB66_59:                              ;   in Loop: Header=BB66_33 Depth=1
	s_or_b32 exec_lo, exec_lo, s33
	s_and_saveexec_b32 s33, s26
	s_cbranch_execnz .LBB66_92
.LBB66_60:                              ;   in Loop: Header=BB66_33 Depth=1
	s_or_b32 exec_lo, exec_lo, s33
	s_and_saveexec_b32 s33, s27
	s_cbranch_execnz .LBB66_93
.LBB66_61:                              ;   in Loop: Header=BB66_33 Depth=1
	s_or_b32 exec_lo, exec_lo, s33
	s_and_saveexec_b32 s33, s28
	s_cbranch_execnz .LBB66_94
.LBB66_62:                              ;   in Loop: Header=BB66_33 Depth=1
	s_or_b32 exec_lo, exec_lo, s33
	s_and_saveexec_b32 s33, s29
	s_cbranch_execnz .LBB66_95
.LBB66_63:                              ;   in Loop: Header=BB66_33 Depth=1
	s_or_b32 exec_lo, exec_lo, s33
	s_and_saveexec_b32 s33, s30
	s_cbranch_execnz .LBB66_96
.LBB66_64:                              ;   in Loop: Header=BB66_33 Depth=1
	s_or_b32 exec_lo, exec_lo, s33
	v_ashrrev_i32_e32 v8, 31, v7
	s_and_saveexec_b32 s33, s31
	s_cbranch_execnz .LBB66_97
.LBB66_65:                              ;   in Loop: Header=BB66_33 Depth=1
	s_or_b32 exec_lo, exec_lo, s33
	s_and_saveexec_b32 s31, vcc_lo
	s_cbranch_execz .LBB66_32
	s_branch .LBB66_98
.LBB66_66:                              ;   in Loop: Header=BB66_33 Depth=1
	v_mov_b32_e32 v1, s41
	ds_read_b32 v1, v1
	s_waitcnt lgkmcnt(0)
	v_add_nc_u32_e32 v7, v1, v7
	s_or_b32 exec_lo, exec_lo, s33
	s_and_saveexec_b32 s33, s1
	s_cbranch_execz .LBB66_35
.LBB66_67:                              ;   in Loop: Header=BB66_33 Depth=1
	v_mov_b32_e32 v1, s42
	ds_read_b32 v1, v1
	s_waitcnt lgkmcnt(0)
	v_add_nc_u32_e32 v7, v7, v1
	s_or_b32 exec_lo, exec_lo, s33
	s_and_saveexec_b32 s33, s2
	s_cbranch_execz .LBB66_36
.LBB66_68:                              ;   in Loop: Header=BB66_33 Depth=1
	v_mov_b32_e32 v1, s43
	ds_read_b32 v1, v1
	s_waitcnt lgkmcnt(0)
	v_add_nc_u32_e32 v7, v7, v1
	s_or_b32 exec_lo, exec_lo, s33
	s_and_saveexec_b32 s33, s3
	s_cbranch_execz .LBB66_37
.LBB66_69:                              ;   in Loop: Header=BB66_33 Depth=1
	v_mov_b32_e32 v1, s44
	ds_read_b32 v1, v1
	s_waitcnt lgkmcnt(0)
	v_add_nc_u32_e32 v7, v7, v1
	s_or_b32 exec_lo, exec_lo, s33
	s_and_saveexec_b32 s33, s4
	s_cbranch_execz .LBB66_38
.LBB66_70:                              ;   in Loop: Header=BB66_33 Depth=1
	v_mov_b32_e32 v1, s45
	ds_read_b32 v1, v1
	s_waitcnt lgkmcnt(0)
	v_add_nc_u32_e32 v7, v7, v1
	s_or_b32 exec_lo, exec_lo, s33
	s_and_saveexec_b32 s33, s5
	s_cbranch_execz .LBB66_39
.LBB66_71:                              ;   in Loop: Header=BB66_33 Depth=1
	v_mov_b32_e32 v1, s47
	ds_read_b32 v1, v1
	s_waitcnt lgkmcnt(0)
	v_add_nc_u32_e32 v7, v7, v1
	s_or_b32 exec_lo, exec_lo, s33
	s_and_saveexec_b32 s33, s6
	s_cbranch_execz .LBB66_40
.LBB66_72:                              ;   in Loop: Header=BB66_33 Depth=1
	v_mov_b32_e32 v1, s48
	ds_read_b32 v1, v1
	s_waitcnt lgkmcnt(0)
	v_add_nc_u32_e32 v7, v7, v1
	s_or_b32 exec_lo, exec_lo, s33
	s_and_saveexec_b32 s33, s7
	s_cbranch_execz .LBB66_41
.LBB66_73:                              ;   in Loop: Header=BB66_33 Depth=1
	v_mov_b32_e32 v1, s49
	ds_read_b32 v1, v1
	s_waitcnt lgkmcnt(0)
	v_add_nc_u32_e32 v7, v7, v1
	s_or_b32 exec_lo, exec_lo, s33
	s_and_saveexec_b32 s33, s8
	s_cbranch_execz .LBB66_42
.LBB66_74:                              ;   in Loop: Header=BB66_33 Depth=1
	v_mov_b32_e32 v1, s52
	ds_read_b32 v1, v1
	s_waitcnt lgkmcnt(0)
	v_add_nc_u32_e32 v7, v7, v1
	s_or_b32 exec_lo, exec_lo, s33
	s_and_saveexec_b32 s33, s9
	s_cbranch_execz .LBB66_43
.LBB66_75:                              ;   in Loop: Header=BB66_33 Depth=1
	v_mov_b32_e32 v1, s53
	ds_read_b32 v1, v1
	s_waitcnt lgkmcnt(0)
	v_add_nc_u32_e32 v7, v7, v1
	s_or_b32 exec_lo, exec_lo, s33
	s_and_saveexec_b32 s33, s10
	s_cbranch_execz .LBB66_44
.LBB66_76:                              ;   in Loop: Header=BB66_33 Depth=1
	v_mov_b32_e32 v1, s54
	ds_read_b32 v1, v1
	s_waitcnt lgkmcnt(0)
	v_add_nc_u32_e32 v7, v7, v1
	s_or_b32 exec_lo, exec_lo, s33
	s_and_saveexec_b32 s33, s11
	s_cbranch_execz .LBB66_45
.LBB66_77:                              ;   in Loop: Header=BB66_33 Depth=1
	v_mov_b32_e32 v1, s55
	ds_read_b32 v1, v1
	s_waitcnt lgkmcnt(0)
	v_add_nc_u32_e32 v7, v7, v1
	s_or_b32 exec_lo, exec_lo, s33
	s_and_saveexec_b32 s33, s12
	s_cbranch_execz .LBB66_46
.LBB66_78:                              ;   in Loop: Header=BB66_33 Depth=1
	v_mov_b32_e32 v1, s56
	ds_read_b32 v1, v1
	s_waitcnt lgkmcnt(0)
	v_add_nc_u32_e32 v7, v7, v1
	s_or_b32 exec_lo, exec_lo, s33
	s_and_saveexec_b32 s33, s13
	s_cbranch_execz .LBB66_47
.LBB66_79:                              ;   in Loop: Header=BB66_33 Depth=1
	v_mov_b32_e32 v1, s57
	ds_read_b32 v1, v1
	s_waitcnt lgkmcnt(0)
	v_add_nc_u32_e32 v7, v7, v1
	s_or_b32 exec_lo, exec_lo, s33
	s_and_saveexec_b32 s33, s14
	s_cbranch_execz .LBB66_48
.LBB66_80:                              ;   in Loop: Header=BB66_33 Depth=1
	v_mov_b32_e32 v1, s58
	ds_read_b32 v1, v1
	s_waitcnt lgkmcnt(0)
	v_add_nc_u32_e32 v7, v7, v1
	s_or_b32 exec_lo, exec_lo, s33
	s_and_saveexec_b32 s33, s15
	s_cbranch_execz .LBB66_49
.LBB66_81:                              ;   in Loop: Header=BB66_33 Depth=1
	v_mov_b32_e32 v1, s59
	ds_read_b32 v1, v1
	s_waitcnt lgkmcnt(0)
	v_add_nc_u32_e32 v7, v7, v1
	s_or_b32 exec_lo, exec_lo, s33
	s_and_saveexec_b32 s33, s16
	s_cbranch_execz .LBB66_50
.LBB66_82:                              ;   in Loop: Header=BB66_33 Depth=1
	v_mov_b32_e32 v1, s60
	ds_read_b32 v1, v1
	s_waitcnt lgkmcnt(0)
	v_add_nc_u32_e32 v7, v7, v1
	s_or_b32 exec_lo, exec_lo, s33
	s_and_saveexec_b32 s33, s17
	s_cbranch_execz .LBB66_51
.LBB66_83:                              ;   in Loop: Header=BB66_33 Depth=1
	v_mov_b32_e32 v1, s61
	ds_read_b32 v1, v1
	s_waitcnt lgkmcnt(0)
	v_add_nc_u32_e32 v7, v7, v1
	s_or_b32 exec_lo, exec_lo, s33
	s_and_saveexec_b32 s33, s18
	s_cbranch_execz .LBB66_52
.LBB66_84:                              ;   in Loop: Header=BB66_33 Depth=1
	v_mov_b32_e32 v1, s62
	ds_read_b32 v1, v1
	s_waitcnt lgkmcnt(0)
	v_add_nc_u32_e32 v7, v7, v1
	s_or_b32 exec_lo, exec_lo, s33
	s_and_saveexec_b32 s33, s19
	s_cbranch_execz .LBB66_53
.LBB66_85:                              ;   in Loop: Header=BB66_33 Depth=1
	v_mov_b32_e32 v1, s63
	ds_read_b32 v1, v1
	s_waitcnt lgkmcnt(0)
	v_add_nc_u32_e32 v7, v7, v1
	s_or_b32 exec_lo, exec_lo, s33
	s_and_saveexec_b32 s33, s20
	s_cbranch_execz .LBB66_54
.LBB66_86:                              ;   in Loop: Header=BB66_33 Depth=1
	v_mov_b32_e32 v1, s64
	ds_read_b32 v1, v1
	s_waitcnt lgkmcnt(0)
	v_add_nc_u32_e32 v7, v7, v1
	s_or_b32 exec_lo, exec_lo, s33
	s_and_saveexec_b32 s33, s21
	s_cbranch_execz .LBB66_55
.LBB66_87:                              ;   in Loop: Header=BB66_33 Depth=1
	v_mov_b32_e32 v1, s65
	ds_read_b32 v1, v1
	s_waitcnt lgkmcnt(0)
	v_add_nc_u32_e32 v7, v7, v1
	s_or_b32 exec_lo, exec_lo, s33
	s_and_saveexec_b32 s33, s22
	s_cbranch_execz .LBB66_56
.LBB66_88:                              ;   in Loop: Header=BB66_33 Depth=1
	v_mov_b32_e32 v1, s66
	ds_read_b32 v1, v1
	s_waitcnt lgkmcnt(0)
	v_add_nc_u32_e32 v7, v7, v1
	s_or_b32 exec_lo, exec_lo, s33
	s_and_saveexec_b32 s33, s23
	s_cbranch_execz .LBB66_57
.LBB66_89:                              ;   in Loop: Header=BB66_33 Depth=1
	v_mov_b32_e32 v1, s67
	ds_read_b32 v1, v1
	s_waitcnt lgkmcnt(0)
	v_add_nc_u32_e32 v7, v7, v1
	s_or_b32 exec_lo, exec_lo, s33
	s_and_saveexec_b32 s33, s24
	s_cbranch_execz .LBB66_58
.LBB66_90:                              ;   in Loop: Header=BB66_33 Depth=1
	v_mov_b32_e32 v1, s68
	ds_read_b32 v1, v1
	s_waitcnt lgkmcnt(0)
	v_add_nc_u32_e32 v7, v7, v1
	s_or_b32 exec_lo, exec_lo, s33
	s_and_saveexec_b32 s33, s25
	s_cbranch_execz .LBB66_59
.LBB66_91:                              ;   in Loop: Header=BB66_33 Depth=1
	v_mov_b32_e32 v1, s69
	ds_read_b32 v1, v1
	s_waitcnt lgkmcnt(0)
	v_add_nc_u32_e32 v7, v7, v1
	s_or_b32 exec_lo, exec_lo, s33
	s_and_saveexec_b32 s33, s26
	s_cbranch_execz .LBB66_60
.LBB66_92:                              ;   in Loop: Header=BB66_33 Depth=1
	v_mov_b32_e32 v1, s70
	ds_read_b32 v1, v1
	s_waitcnt lgkmcnt(0)
	v_add_nc_u32_e32 v7, v7, v1
	s_or_b32 exec_lo, exec_lo, s33
	s_and_saveexec_b32 s33, s27
	s_cbranch_execz .LBB66_61
.LBB66_93:                              ;   in Loop: Header=BB66_33 Depth=1
	v_mov_b32_e32 v1, s71
	ds_read_b32 v1, v1
	s_waitcnt lgkmcnt(0)
	v_add_nc_u32_e32 v7, v7, v1
	s_or_b32 exec_lo, exec_lo, s33
	s_and_saveexec_b32 s33, s28
	s_cbranch_execz .LBB66_62
.LBB66_94:                              ;   in Loop: Header=BB66_33 Depth=1
	v_mov_b32_e32 v1, s72
	ds_read_b32 v1, v1
	s_waitcnt lgkmcnt(0)
	v_add_nc_u32_e32 v7, v7, v1
	s_or_b32 exec_lo, exec_lo, s33
	s_and_saveexec_b32 s33, s29
	s_cbranch_execz .LBB66_63
.LBB66_95:                              ;   in Loop: Header=BB66_33 Depth=1
	v_mov_b32_e32 v1, s73
	ds_read_b32 v1, v1
	s_waitcnt lgkmcnt(0)
	v_add_nc_u32_e32 v7, v7, v1
	s_or_b32 exec_lo, exec_lo, s33
	s_and_saveexec_b32 s33, s30
	s_cbranch_execz .LBB66_64
.LBB66_96:                              ;   in Loop: Header=BB66_33 Depth=1
	v_mov_b32_e32 v1, s74
	ds_read_b32 v1, v1
	s_waitcnt lgkmcnt(0)
	v_add_nc_u32_e32 v7, v7, v1
	s_or_b32 exec_lo, exec_lo, s33
	v_ashrrev_i32_e32 v8, 31, v7
	s_and_saveexec_b32 s33, s31
	s_cbranch_execz .LBB66_65
.LBB66_97:                              ;   in Loop: Header=BB66_33 Depth=1
	v_lshlrev_b32_e32 v1, 3, v3
	v_lshlrev_b32_e32 v13, 3, v7
	v_add_nc_u32_e32 v1, 0, v1
	v_add3_u32 v1, v1, v13, -8
	ds_write_b64 v1, v[5:6]
	s_or_b32 exec_lo, exec_lo, s33
	s_and_saveexec_b32 s31, vcc_lo
	s_cbranch_execz .LBB66_32
.LBB66_98:                              ;   in Loop: Header=BB66_33 Depth=1
	v_mov_b32_e32 v1, s75
	ds_write_b64 v1, v[7:8]
	s_branch .LBB66_32
.LBB66_99:
	s_or_b32 exec_lo, exec_lo, s40
	s_lshl_b64 s[0:1], s[38:39], 3
	v_mov_b32_e32 v1, 0
	s_add_u32 s0, s50, s0
	s_addc_u32 s1, s51, s1
	s_mov_b32 s6, exec_lo
	s_load_dwordx4 s[0:3], s[0:1], 0x0
	s_waitcnt lgkmcnt(0)
	s_sub_u32 s4, s2, s0
	s_subb_u32 s5, s3, s1
	v_cmpx_gt_i64_e64 s[4:5], v[0:1]
	s_cbranch_execz .LBB66_109
; %bb.100:
	s_sub_u32 s8, s0, s46
	s_subb_u32 s9, s1, 0
	s_and_b32 s6, s4, 7
	s_sub_u32 s0, s0, s2
	s_subb_u32 s1, s1, s3
	s_mov_b32 s7, 0
	v_cmp_lt_u64_e64 s12, s[0:1], -7
	s_and_b32 s2, s4, -8
	s_cmp_lg_u64 s[6:7], 0
	s_mov_b32 s3, s5
	s_cselect_b32 s13, -1, 0
	s_mov_b32 s14, s7
	s_branch .LBB66_102
.LBB66_101:                             ;   in Loop: Header=BB66_102 Depth=1
	v_add_co_u32 v0, vcc_lo, 0x400, v0
	v_lshlrev_b64 v[4:5], 3, v[4:5]
	v_add_co_ci_u32_e64 v1, null, 0, v1, vcc_lo
	s_waitcnt lgkmcnt(0)
	v_add_co_u32 v2, vcc_lo, v2, s46
	v_add_co_ci_u32_e64 v3, null, 0, v3, vcc_lo
	v_cmp_le_i64_e32 vcc_lo, s[4:5], v[0:1]
	v_add_co_u32 v4, s0, s34, v4
	v_add_co_ci_u32_e64 v5, null, s35, v5, s0
	s_or_b32 s14, vcc_lo, s14
	global_store_dwordx2 v[4:5], v[2:3], off
	s_andn2_b32 exec_lo, exec_lo, s14
	s_cbranch_execz .LBB66_109
.LBB66_102:                             ; =>This Loop Header: Depth=1
                                        ;     Child Loop BB66_104 Depth 2
                                        ;     Child Loop BB66_108 Depth 2
	v_lshl_add_u32 v2, v0, 3, 0
	v_mov_b32_e32 v4, s8
	v_mov_b32_e32 v5, s9
	s_andn2_b32 vcc_lo, exec_lo, s12
	s_mov_b64 s[0:1], 0
	ds_read_b64 v[2:3], v2
	s_cbranch_vccnz .LBB66_106
; %bb.103:                              ;   in Loop: Header=BB66_102 Depth=1
	v_mov_b32_e32 v4, s8
	v_mov_b32_e32 v5, s9
	s_mov_b64 s[10:11], 0
	s_mov_b32 s1, 0
.LBB66_104:                             ;   Parent Loop BB66_102 Depth=1
                                        ; =>  This Inner Loop Header: Depth=2
	v_mov_b32_e32 v18, s1
	s_add_u32 s10, s10, 8
	s_addc_u32 s11, s11, 0
	s_add_i32 s1, s1, 64
	s_cmp_eq_u64 s[2:3], s[10:11]
	ds_read2_b64 v[6:9], v18 offset1:1
	ds_read2_b64 v[10:13], v18 offset0:2 offset1:3
	ds_read2_b64 v[14:17], v18 offset0:4 offset1:5
	;; [unrolled: 1-line block ×3, first 2 shown]
	s_waitcnt lgkmcnt(3)
	v_cmp_gt_i64_e32 vcc_lo, v[2:3], v[6:7]
	v_cndmask_b32_e64 v6, 0, 1, vcc_lo
	v_cmp_gt_i64_e32 vcc_lo, v[2:3], v[8:9]
	v_cndmask_b32_e64 v7, 0, 1, vcc_lo
	s_waitcnt lgkmcnt(2)
	v_cmp_gt_i64_e32 vcc_lo, v[2:3], v[10:11]
	v_cndmask_b32_e64 v8, 0, 1, vcc_lo
	v_cmp_gt_i64_e32 vcc_lo, v[2:3], v[12:13]
	v_cndmask_b32_e64 v9, 0, 1, vcc_lo
	s_waitcnt lgkmcnt(1)
	v_cmp_gt_i64_e32 vcc_lo, v[2:3], v[14:15]
	v_cndmask_b32_e64 v10, 0, 1, vcc_lo
	v_add_co_u32 v4, vcc_lo, v4, v6
	v_add_co_ci_u32_e64 v5, null, 0, v5, vcc_lo
	v_cmp_gt_i64_e32 vcc_lo, v[2:3], v[16:17]
	v_add_co_u32 v4, s0, v4, v7
	v_add_co_ci_u32_e64 v5, null, 0, v5, s0
	v_cndmask_b32_e64 v6, 0, 1, vcc_lo
	v_add_co_u32 v4, vcc_lo, v4, v8
	v_add_co_ci_u32_e64 v5, null, 0, v5, vcc_lo
	s_waitcnt lgkmcnt(0)
	v_cmp_gt_i64_e32 vcc_lo, v[2:3], v[18:19]
	v_add_co_u32 v4, s0, v4, v9
	v_add_co_ci_u32_e64 v5, null, 0, v5, s0
	v_cndmask_b32_e64 v7, 0, 1, vcc_lo
	v_add_co_u32 v4, vcc_lo, v4, v10
	v_add_co_ci_u32_e64 v5, null, 0, v5, vcc_lo
	v_cmp_gt_i64_e32 vcc_lo, v[2:3], v[20:21]
	v_add_co_u32 v4, s0, v4, v6
	v_add_co_ci_u32_e64 v5, null, 0, v5, s0
	v_cndmask_b32_e64 v6, 0, 1, vcc_lo
	v_add_co_u32 v4, vcc_lo, v4, v7
	v_add_co_ci_u32_e64 v5, null, 0, v5, vcc_lo
	v_add_co_u32 v4, vcc_lo, v4, v6
	v_add_co_ci_u32_e64 v5, null, 0, v5, vcc_lo
	s_cbranch_scc0 .LBB66_104
; %bb.105:                              ;   in Loop: Header=BB66_102 Depth=1
	s_mov_b64 s[0:1], s[2:3]
.LBB66_106:                             ;   in Loop: Header=BB66_102 Depth=1
	s_andn2_b32 vcc_lo, exec_lo, s13
	s_cbranch_vccnz .LBB66_101
; %bb.107:                              ;   in Loop: Header=BB66_102 Depth=1
	s_lshl_b32 s0, s0, 3
	s_add_i32 s10, s0, 0
	s_mov_b64 s[0:1], s[6:7]
.LBB66_108:                             ;   Parent Loop BB66_102 Depth=1
                                        ; =>  This Inner Loop Header: Depth=2
	v_mov_b32_e32 v6, s10
	s_add_i32 s10, s10, 8
	s_add_u32 s0, s0, -1
	s_addc_u32 s1, s1, -1
	s_cmp_lg_u64 s[0:1], 0
	ds_read_b64 v[6:7], v6
	s_waitcnt lgkmcnt(0)
	v_cmp_gt_i64_e32 vcc_lo, v[2:3], v[6:7]
	v_cndmask_b32_e64 v6, 0, 1, vcc_lo
	v_add_co_u32 v4, vcc_lo, v4, v6
	v_add_co_ci_u32_e64 v5, null, 0, v5, vcc_lo
	s_cbranch_scc1 .LBB66_108
	s_branch .LBB66_101
.LBB66_109:
	s_endpgm
	.section	.rodata,"a",@progbits
	.p2align	6, 0x0
	.amdhsa_kernel _ZN9rocsparseL35csrgemm_symbolic_fill_block_per_rowILj1024ELj64ELj32768ELj137ELj32EllEEvT5_PKS1_S3_PKT4_S3_S6_S3_S6_S3_S6_PS1_21rocsparse_index_base_S8_S8_S8_bb
		.amdhsa_group_segment_fixed_size 0
		.amdhsa_private_segment_fixed_size 0
		.amdhsa_kernarg_size 108
		.amdhsa_user_sgpr_count 6
		.amdhsa_user_sgpr_private_segment_buffer 1
		.amdhsa_user_sgpr_dispatch_ptr 0
		.amdhsa_user_sgpr_queue_ptr 0
		.amdhsa_user_sgpr_kernarg_segment_ptr 1
		.amdhsa_user_sgpr_dispatch_id 0
		.amdhsa_user_sgpr_flat_scratch_init 0
		.amdhsa_user_sgpr_private_segment_size 0
		.amdhsa_wavefront_size32 1
		.amdhsa_uses_dynamic_stack 0
		.amdhsa_system_sgpr_private_segment_wavefront_offset 0
		.amdhsa_system_sgpr_workgroup_id_x 1
		.amdhsa_system_sgpr_workgroup_id_y 0
		.amdhsa_system_sgpr_workgroup_id_z 0
		.amdhsa_system_sgpr_workgroup_info 0
		.amdhsa_system_vgpr_workitem_id 0
		.amdhsa_next_free_vgpr 22
		.amdhsa_next_free_sgpr 76
		.amdhsa_reserve_vcc 1
		.amdhsa_reserve_flat_scratch 0
		.amdhsa_float_round_mode_32 0
		.amdhsa_float_round_mode_16_64 0
		.amdhsa_float_denorm_mode_32 3
		.amdhsa_float_denorm_mode_16_64 3
		.amdhsa_dx10_clamp 1
		.amdhsa_ieee_mode 1
		.amdhsa_fp16_overflow 0
		.amdhsa_workgroup_processor_mode 1
		.amdhsa_memory_ordered 1
		.amdhsa_forward_progress 1
		.amdhsa_shared_vgpr_count 0
		.amdhsa_exception_fp_ieee_invalid_op 0
		.amdhsa_exception_fp_denorm_src 0
		.amdhsa_exception_fp_ieee_div_zero 0
		.amdhsa_exception_fp_ieee_overflow 0
		.amdhsa_exception_fp_ieee_underflow 0
		.amdhsa_exception_fp_ieee_inexact 0
		.amdhsa_exception_int_div_zero 0
	.end_amdhsa_kernel
	.section	.text._ZN9rocsparseL35csrgemm_symbolic_fill_block_per_rowILj1024ELj64ELj32768ELj137ELj32EllEEvT5_PKS1_S3_PKT4_S3_S6_S3_S6_S3_S6_PS1_21rocsparse_index_base_S8_S8_S8_bb,"axG",@progbits,_ZN9rocsparseL35csrgemm_symbolic_fill_block_per_rowILj1024ELj64ELj32768ELj137ELj32EllEEvT5_PKS1_S3_PKT4_S3_S6_S3_S6_S3_S6_PS1_21rocsparse_index_base_S8_S8_S8_bb,comdat
.Lfunc_end66:
	.size	_ZN9rocsparseL35csrgemm_symbolic_fill_block_per_rowILj1024ELj64ELj32768ELj137ELj32EllEEvT5_PKS1_S3_PKT4_S3_S6_S3_S6_S3_S6_PS1_21rocsparse_index_base_S8_S8_S8_bb, .Lfunc_end66-_ZN9rocsparseL35csrgemm_symbolic_fill_block_per_rowILj1024ELj64ELj32768ELj137ELj32EllEEvT5_PKS1_S3_PKT4_S3_S6_S3_S6_S3_S6_PS1_21rocsparse_index_base_S8_S8_S8_bb
                                        ; -- End function
	.set _ZN9rocsparseL35csrgemm_symbolic_fill_block_per_rowILj1024ELj64ELj32768ELj137ELj32EllEEvT5_PKS1_S3_PKT4_S3_S6_S3_S6_S3_S6_PS1_21rocsparse_index_base_S8_S8_S8_bb.num_vgpr, 22
	.set _ZN9rocsparseL35csrgemm_symbolic_fill_block_per_rowILj1024ELj64ELj32768ELj137ELj32EllEEvT5_PKS1_S3_PKT4_S3_S6_S3_S6_S3_S6_PS1_21rocsparse_index_base_S8_S8_S8_bb.num_agpr, 0
	.set _ZN9rocsparseL35csrgemm_symbolic_fill_block_per_rowILj1024ELj64ELj32768ELj137ELj32EllEEvT5_PKS1_S3_PKT4_S3_S6_S3_S6_S3_S6_PS1_21rocsparse_index_base_S8_S8_S8_bb.numbered_sgpr, 76
	.set _ZN9rocsparseL35csrgemm_symbolic_fill_block_per_rowILj1024ELj64ELj32768ELj137ELj32EllEEvT5_PKS1_S3_PKT4_S3_S6_S3_S6_S3_S6_PS1_21rocsparse_index_base_S8_S8_S8_bb.num_named_barrier, 0
	.set _ZN9rocsparseL35csrgemm_symbolic_fill_block_per_rowILj1024ELj64ELj32768ELj137ELj32EllEEvT5_PKS1_S3_PKT4_S3_S6_S3_S6_S3_S6_PS1_21rocsparse_index_base_S8_S8_S8_bb.private_seg_size, 0
	.set _ZN9rocsparseL35csrgemm_symbolic_fill_block_per_rowILj1024ELj64ELj32768ELj137ELj32EllEEvT5_PKS1_S3_PKT4_S3_S6_S3_S6_S3_S6_PS1_21rocsparse_index_base_S8_S8_S8_bb.uses_vcc, 1
	.set _ZN9rocsparseL35csrgemm_symbolic_fill_block_per_rowILj1024ELj64ELj32768ELj137ELj32EllEEvT5_PKS1_S3_PKT4_S3_S6_S3_S6_S3_S6_PS1_21rocsparse_index_base_S8_S8_S8_bb.uses_flat_scratch, 0
	.set _ZN9rocsparseL35csrgemm_symbolic_fill_block_per_rowILj1024ELj64ELj32768ELj137ELj32EllEEvT5_PKS1_S3_PKT4_S3_S6_S3_S6_S3_S6_PS1_21rocsparse_index_base_S8_S8_S8_bb.has_dyn_sized_stack, 0
	.set _ZN9rocsparseL35csrgemm_symbolic_fill_block_per_rowILj1024ELj64ELj32768ELj137ELj32EllEEvT5_PKS1_S3_PKT4_S3_S6_S3_S6_S3_S6_PS1_21rocsparse_index_base_S8_S8_S8_bb.has_recursion, 0
	.set _ZN9rocsparseL35csrgemm_symbolic_fill_block_per_rowILj1024ELj64ELj32768ELj137ELj32EllEEvT5_PKS1_S3_PKT4_S3_S6_S3_S6_S3_S6_PS1_21rocsparse_index_base_S8_S8_S8_bb.has_indirect_call, 0
	.section	.AMDGPU.csdata,"",@progbits
; Kernel info:
; codeLenInByte = 4284
; TotalNumSgprs: 78
; NumVgprs: 22
; ScratchSize: 0
; MemoryBound: 0
; FloatMode: 240
; IeeeMode: 1
; LDSByteSize: 0 bytes/workgroup (compile time only)
; SGPRBlocks: 0
; VGPRBlocks: 2
; NumSGPRsForWavesPerEU: 78
; NumVGPRsForWavesPerEU: 22
; Occupancy: 16
; WaveLimiterHint : 1
; COMPUTE_PGM_RSRC2:SCRATCH_EN: 0
; COMPUTE_PGM_RSRC2:USER_SGPR: 6
; COMPUTE_PGM_RSRC2:TRAP_HANDLER: 0
; COMPUTE_PGM_RSRC2:TGID_X_EN: 1
; COMPUTE_PGM_RSRC2:TGID_Y_EN: 0
; COMPUTE_PGM_RSRC2:TGID_Z_EN: 0
; COMPUTE_PGM_RSRC2:TIDIG_COMP_CNT: 0
	.section	.text._ZN9rocsparseL35csrgemm_symbolic_fill_block_per_rowILj1024ELj64ELj32768ELj137ELj64EllEEvT5_PKS1_S3_PKT4_S3_S6_S3_S6_S3_S6_PS1_21rocsparse_index_base_S8_S8_S8_bb,"axG",@progbits,_ZN9rocsparseL35csrgemm_symbolic_fill_block_per_rowILj1024ELj64ELj32768ELj137ELj64EllEEvT5_PKS1_S3_PKT4_S3_S6_S3_S6_S3_S6_PS1_21rocsparse_index_base_S8_S8_S8_bb,comdat
	.globl	_ZN9rocsparseL35csrgemm_symbolic_fill_block_per_rowILj1024ELj64ELj32768ELj137ELj64EllEEvT5_PKS1_S3_PKT4_S3_S6_S3_S6_S3_S6_PS1_21rocsparse_index_base_S8_S8_S8_bb ; -- Begin function _ZN9rocsparseL35csrgemm_symbolic_fill_block_per_rowILj1024ELj64ELj32768ELj137ELj64EllEEvT5_PKS1_S3_PKT4_S3_S6_S3_S6_S3_S6_PS1_21rocsparse_index_base_S8_S8_S8_bb
	.p2align	8
	.type	_ZN9rocsparseL35csrgemm_symbolic_fill_block_per_rowILj1024ELj64ELj32768ELj137ELj64EllEEvT5_PKS1_S3_PKT4_S3_S6_S3_S6_S3_S6_PS1_21rocsparse_index_base_S8_S8_S8_bb,@function
_ZN9rocsparseL35csrgemm_symbolic_fill_block_per_rowILj1024ELj64ELj32768ELj137ELj64EllEEvT5_PKS1_S3_PKT4_S3_S6_S3_S6_S3_S6_PS1_21rocsparse_index_base_S8_S8_S8_bb: ; @_ZN9rocsparseL35csrgemm_symbolic_fill_block_per_rowILj1024ELj64ELj32768ELj137ELj64EllEEvT5_PKS1_S3_PKT4_S3_S6_S3_S6_S3_S6_PS1_21rocsparse_index_base_S8_S8_S8_bb
; %bb.0:
	s_clause 0x3
	s_load_dwordx8 s[20:27], s[4:5], 0x0
	s_load_dwordx2 s[34:35], s[4:5], 0x50
	s_load_dwordx4 s[28:31], s[4:5], 0x40
	s_load_dwordx8 s[8:15], s[4:5], 0x20
	v_lshl_add_u32 v11, v0, 3, 0
	v_or_b32_e32 v12, 0xfffffc00, v0
	s_mov_b32 s0, 0
	v_mov_b32_e32 v3, v11
	v_mov_b32_e32 v4, v12
	s_waitcnt lgkmcnt(0)
	v_mov_b32_e32 v1, s20
	v_mov_b32_e32 v2, s21
.LBB67_1:                               ; =>This Inner Loop Header: Depth=1
	v_add_nc_u32_e32 v4, 0x400, v4
	ds_write_b64 v3, v[1:2]
	v_add_nc_u32_e32 v3, 0x2000, v3
	v_cmp_lt_u32_e32 vcc_lo, 0x7bff, v4
	s_or_b32 s0, vcc_lo, s0
	s_andn2_b32 exec_lo, exec_lo, s0
	s_cbranch_execnz .LBB67_1
; %bb.2:
	s_or_b32 exec_lo, exec_lo, s0
	s_load_dword s2, s[4:5], 0x68
	s_waitcnt lgkmcnt(0)
	s_barrier
	buffer_gl0_inv
	s_load_dwordx2 s[0:1], s[22:23], 0x0
	s_mov_b32 s7, 0
	v_lshrrev_b32_e32 v13, 6, v0
	s_bitcmp1_b32 s2, 0
	s_cselect_b32 s3, -1, 0
	s_waitcnt lgkmcnt(0)
	s_lshl_b64 s[0:1], s[0:1], 3
	s_add_u32 s16, s24, s0
	s_addc_u32 s17, s25, s1
	s_lshl_b64 s[0:1], s[6:7], 3
	s_add_u32 s0, s16, s0
	s_addc_u32 s1, s17, s1
	s_load_dwordx4 s[16:19], s[4:5], 0x58
	s_load_dwordx2 s[22:23], s[0:1], 0x0
	s_and_b32 vcc_lo, exec_lo, s3
	s_cbranch_vccz .LBB67_18
; %bb.3:
	s_waitcnt lgkmcnt(0)
	s_lshl_b64 s[0:1], s[22:23], 3
	s_mov_b32 s3, exec_lo
	s_add_u32 s0, s26, s0
	s_addc_u32 s1, s27, s1
	s_load_dwordx4 s[4:7], s[0:1], 0x0
	v_sub_co_u32 v1, s0, v13, s16
	v_sub_co_ci_u32_e64 v2, null, 0, 0, s0
	s_waitcnt lgkmcnt(0)
	v_add_co_u32 v1, vcc_lo, s4, v1
	v_add_co_ci_u32_e64 v2, null, s5, v2, vcc_lo
	s_sub_u32 s0, s6, s16
	s_subb_u32 s1, s7, 0
	v_cmpx_gt_i64_e64 s[0:1], v[1:2]
	s_cbranch_execz .LBB67_17
; %bb.4:
	v_and_b32_e32 v3, 63, v0
	s_mov_b32 s5, s17
	v_sub_co_u32 v14, s4, v3, s17
	v_sub_co_ci_u32_e64 v15, null, 0, 0, s4
	s_mov_b32 s4, 0
	s_branch .LBB67_6
.LBB67_5:                               ;   in Loop: Header=BB67_6 Depth=1
	s_or_b32 exec_lo, exec_lo, s6
	v_add_co_u32 v1, vcc_lo, v1, 16
	v_add_co_ci_u32_e64 v2, null, 0, v2, vcc_lo
	v_cmp_le_i64_e32 vcc_lo, s[0:1], v[1:2]
	s_or_b32 s4, vcc_lo, s4
	s_andn2_b32 exec_lo, exec_lo, s4
	s_cbranch_execz .LBB67_17
.LBB67_6:                               ; =>This Loop Header: Depth=1
                                        ;     Child Loop BB67_9 Depth 2
                                        ;       Child Loop BB67_12 Depth 3
	v_lshlrev_b64 v[3:4], 3, v[1:2]
	s_mov_b32 s6, exec_lo
	v_add_co_u32 v3, vcc_lo, s8, v3
	v_add_co_ci_u32_e64 v4, null, s9, v4, vcc_lo
	global_load_dwordx2 v[3:4], v[3:4], off
	s_waitcnt vmcnt(0)
	v_sub_co_u32 v3, vcc_lo, v3, s16
	v_subrev_co_ci_u32_e64 v4, null, 0, v4, vcc_lo
	v_lshlrev_b64 v[3:4], 3, v[3:4]
	v_add_co_u32 v3, vcc_lo, s10, v3
	v_add_co_ci_u32_e64 v4, null, s11, v4, vcc_lo
	global_load_dwordx4 v[5:8], v[3:4], off
	s_waitcnt vmcnt(0)
	v_sub_co_u32 v3, vcc_lo, v7, s5
	v_subrev_co_ci_u32_e64 v4, null, 0, v8, vcc_lo
	v_add_co_u32 v5, vcc_lo, v5, v14
	v_add_co_ci_u32_e64 v6, null, v6, v15, vcc_lo
	v_cmpx_lt_i64_e64 v[5:6], v[3:4]
	s_cbranch_execz .LBB67_5
; %bb.7:                                ;   in Loop: Header=BB67_6 Depth=1
	s_mov_b32 s7, 0
	s_branch .LBB67_9
.LBB67_8:                               ;   in Loop: Header=BB67_9 Depth=2
	s_inst_prefetch 0x2
	s_or_b32 exec_lo, exec_lo, s17
	v_add_co_u32 v5, vcc_lo, v5, 64
	v_add_co_ci_u32_e64 v6, null, 0, v6, vcc_lo
	v_cmp_ge_i64_e32 vcc_lo, v[5:6], v[3:4]
	s_or_b32 s7, vcc_lo, s7
	s_andn2_b32 exec_lo, exec_lo, s7
	s_cbranch_execz .LBB67_5
.LBB67_9:                               ;   Parent Loop BB67_6 Depth=1
                                        ; =>  This Loop Header: Depth=2
                                        ;       Child Loop BB67_12 Depth 3
	v_lshlrev_b64 v[7:8], 3, v[5:6]
	s_mov_b32 s17, 0
                                        ; implicit-def: $sgpr24
	v_add_co_u32 v7, vcc_lo, s12, v7
	v_add_co_ci_u32_e64 v8, null, s13, v8, vcc_lo
	global_load_dwordx2 v[7:8], v[7:8], off
	s_waitcnt vmcnt(0)
	v_sub_co_u32 v7, vcc_lo, v7, s5
	v_subrev_co_ci_u32_e64 v8, null, 0, v8, vcc_lo
	v_mul_lo_u32 v9, 0x89, v7
	v_and_b32_e32 v16, 0x7fff, v9
	s_inst_prefetch 0x1
	s_branch .LBB67_12
	.p2align	6
.LBB67_10:                              ;   in Loop: Header=BB67_12 Depth=3
	s_or_b32 exec_lo, exec_lo, s26
	s_andn2_b32 s24, s24, exec_lo
	s_and_b32 s26, s27, exec_lo
	s_or_b32 s24, s24, s26
.LBB67_11:                              ;   in Loop: Header=BB67_12 Depth=3
	s_or_b32 exec_lo, exec_lo, s25
	s_xor_b32 s25, s24, -1
	s_and_b32 s25, exec_lo, s25
	s_or_b32 s17, s25, s17
	s_andn2_b32 exec_lo, exec_lo, s17
	s_cbranch_execz .LBB67_8
.LBB67_12:                              ;   Parent Loop BB67_6 Depth=1
                                        ;     Parent Loop BB67_9 Depth=2
                                        ; =>    This Inner Loop Header: Depth=3
	v_lshl_add_u32 v17, v16, 3, 0
	s_andn2_b32 s24, s24, exec_lo
	s_mov_b32 s25, exec_lo
	ds_read_b64 v[9:10], v17
	s_waitcnt lgkmcnt(0)
	v_cmpx_ne_u64_e64 v[9:10], v[7:8]
	s_cbranch_execz .LBB67_11
; %bb.13:                               ;   in Loop: Header=BB67_12 Depth=3
	s_mov_b32 s26, exec_lo
	v_cmpx_ne_u64_e64 s[20:21], v[9:10]
	s_xor_b32 s26, exec_lo, s26
; %bb.14:                               ;   in Loop: Header=BB67_12 Depth=3
	v_add_nc_u32_e32 v9, 1, v16
                                        ; implicit-def: $vgpr17
	v_and_b32_e32 v16, 0x7fff, v9
; %bb.15:                               ;   in Loop: Header=BB67_12 Depth=3
	s_or_saveexec_b32 s26, s26
	s_mov_b32 s27, -1
	s_xor_b32 exec_lo, exec_lo, s26
	s_cbranch_execz .LBB67_10
; %bb.16:                               ;   in Loop: Header=BB67_12 Depth=3
	v_mov_b32_e32 v9, s20
	v_mov_b32_e32 v10, s21
	ds_cmpst_rtn_b64 v[9:10], v17, v[9:10], v[7:8]
	s_waitcnt lgkmcnt(0)
	v_cmp_ne_u64_e32 vcc_lo, s[20:21], v[9:10]
	s_orn2_b32 s27, vcc_lo, exec_lo
	s_branch .LBB67_10
.LBB67_17:
	s_or_b32 exec_lo, exec_lo, s3
.LBB67_18:
	s_bfe_u32 s0, s2, 0x10008
	s_cmp_eq_u32 s0, 0
	s_cbranch_scc1 .LBB67_31
; %bb.19:
	s_waitcnt lgkmcnt(0)
	s_lshl_b64 s[0:1], s[22:23], 3
	v_sub_co_u32 v1, s4, v0, s19
	s_add_u32 s0, s14, s0
	s_addc_u32 s1, s15, s1
	v_sub_co_ci_u32_e64 v2, null, 0, 0, s4
	s_load_dwordx4 s[0:3], s[0:1], 0x0
	s_waitcnt lgkmcnt(0)
	v_add_co_u32 v1, vcc_lo, s0, v1
	v_add_co_ci_u32_e64 v2, null, s1, v2, vcc_lo
	s_sub_u32 s0, s2, s19
	s_subb_u32 s1, s3, 0
	s_mov_b32 s2, 0
	s_mov_b32 s3, exec_lo
	v_cmpx_gt_i64_e64 s[0:1], v[1:2]
	s_cbranch_execz .LBB67_30
; %bb.20:
	s_mov_b32 s4, s19
	s_branch .LBB67_22
.LBB67_21:                              ;   in Loop: Header=BB67_22 Depth=1
	s_inst_prefetch 0x2
	s_or_b32 exec_lo, exec_lo, s5
	v_add_co_u32 v1, vcc_lo, 0x400, v1
	v_add_co_ci_u32_e64 v2, null, 0, v2, vcc_lo
	v_cmp_le_i64_e32 vcc_lo, s[0:1], v[1:2]
	s_or_b32 s2, vcc_lo, s2
	s_andn2_b32 exec_lo, exec_lo, s2
	s_cbranch_execz .LBB67_30
.LBB67_22:                              ; =>This Loop Header: Depth=1
                                        ;     Child Loop BB67_25 Depth 2
	v_lshlrev_b64 v[3:4], 3, v[1:2]
	s_mov_b32 s5, 0
                                        ; implicit-def: $sgpr6
	v_add_co_u32 v3, vcc_lo, s28, v3
	v_add_co_ci_u32_e64 v4, null, s29, v4, vcc_lo
	global_load_dwordx2 v[3:4], v[3:4], off
	s_waitcnt vmcnt(0)
	v_sub_co_u32 v3, vcc_lo, v3, s4
	v_subrev_co_ci_u32_e64 v4, null, 0, v4, vcc_lo
	v_mul_lo_u32 v5, 0x89, v3
	v_and_b32_e32 v7, 0x7fff, v5
	s_inst_prefetch 0x1
	s_branch .LBB67_25
	.p2align	6
.LBB67_23:                              ;   in Loop: Header=BB67_25 Depth=2
	s_or_b32 exec_lo, exec_lo, s8
	s_andn2_b32 s6, s6, exec_lo
	s_and_b32 s8, s9, exec_lo
	s_or_b32 s6, s6, s8
.LBB67_24:                              ;   in Loop: Header=BB67_25 Depth=2
	s_or_b32 exec_lo, exec_lo, s7
	s_xor_b32 s7, s6, -1
	s_and_b32 s7, exec_lo, s7
	s_or_b32 s5, s7, s5
	s_andn2_b32 exec_lo, exec_lo, s5
	s_cbranch_execz .LBB67_21
.LBB67_25:                              ;   Parent Loop BB67_22 Depth=1
                                        ; =>  This Inner Loop Header: Depth=2
	v_lshl_add_u32 v8, v7, 3, 0
	s_andn2_b32 s6, s6, exec_lo
	s_mov_b32 s7, exec_lo
	ds_read_b64 v[5:6], v8
	s_waitcnt lgkmcnt(0)
	v_cmpx_ne_u64_e64 v[5:6], v[3:4]
	s_cbranch_execz .LBB67_24
; %bb.26:                               ;   in Loop: Header=BB67_25 Depth=2
	s_mov_b32 s8, exec_lo
	v_cmpx_ne_u64_e64 s[20:21], v[5:6]
	s_xor_b32 s8, exec_lo, s8
; %bb.27:                               ;   in Loop: Header=BB67_25 Depth=2
	v_add_nc_u32_e32 v5, 1, v7
                                        ; implicit-def: $vgpr8
	v_and_b32_e32 v7, 0x7fff, v5
; %bb.28:                               ;   in Loop: Header=BB67_25 Depth=2
	s_or_saveexec_b32 s8, s8
	s_mov_b32 s9, -1
	s_xor_b32 exec_lo, exec_lo, s8
	s_cbranch_execz .LBB67_23
; %bb.29:                               ;   in Loop: Header=BB67_25 Depth=2
	v_mov_b32_e32 v5, s20
	v_mov_b32_e32 v6, s21
	ds_cmpst_rtn_b64 v[5:6], v8, v[5:6], v[3:4]
	s_waitcnt lgkmcnt(0)
	v_cmp_ne_u64_e32 vcc_lo, s[20:21], v[5:6]
	s_orn2_b32 s9, vcc_lo, exec_lo
	s_branch .LBB67_23
.LBB67_30:
	s_or_b32 exec_lo, exec_lo, s3
.LBB67_31:
	v_mbcnt_lo_u32_b32 v1, -1, 0
	v_lshlrev_b32_e32 v3, 3, v13
	s_add_i32 s39, 0, 0x40078
	v_mov_b32_e32 v2, 0
	v_cmp_lt_u32_e64 s0, 63, v0
	v_xor_b32_e32 v1, 31, v1
	v_add3_u32 v9, 0x40000, 0, v3
	v_mov_b32_e32 v3, 0
	v_cmp_lt_u32_e64 s1, 0x7f, v0
	v_cmp_lt_u32_e64 s2, 0xbf, v0
	v_lshrrev_b32_e64 v10, v1, -1
	v_cmp_lt_u32_e64 s3, 0xff, v0
	v_cmp_lt_u32_e64 s4, 0x13f, v0
	;; [unrolled: 1-line block ×12, first 2 shown]
	v_mov_b32_e32 v4, 0
	v_mov_b32_e32 v13, s39
	s_waitcnt lgkmcnt(0)
	s_mov_b32 s17, 0
	s_add_i32 s19, 0, 0x40000
	s_add_i32 s24, 0, 0x40008
	;; [unrolled: 1-line block ×15, first 2 shown]
	s_barrier
	v_cmp_eq_u32_e32 vcc_lo, 0x3ff, v0
	buffer_gl0_inv
	s_branch .LBB67_33
.LBB67_32:                              ;   in Loop: Header=BB67_33 Depth=1
	s_or_b32 exec_lo, exec_lo, s15
	s_waitcnt lgkmcnt(0)
	s_barrier
	buffer_gl0_inv
	ds_read_b64 v[5:6], v13
	v_add_nc_u32_e32 v12, 0x400, v12
	v_add_nc_u32_e32 v11, 0x2000, v11
	v_cmp_lt_u32_e64 s15, 0x7bff, v12
	s_or_b32 s17, s15, s17
	s_waitcnt lgkmcnt(0)
	v_add_co_u32 v3, s16, v5, v3
	v_add_co_ci_u32_e64 v4, null, v6, v4, s16
	s_andn2_b32 exec_lo, exec_lo, s17
	s_cbranch_execz .LBB67_67
.LBB67_33:                              ; =>This Inner Loop Header: Depth=1
	ds_read_b64 v[5:6], v11
	s_waitcnt lgkmcnt(0)
	s_barrier
	buffer_gl0_inv
	v_cmp_gt_i64_e64 s15, s[20:21], v[5:6]
	v_and_b32_e32 v7, s15, v10
	s_bcnt1_i32_b32 s16, s15
	v_mov_b32_e32 v1, s16
	v_bcnt_u32_b32 v7, v7, 0
	ds_write_b64 v9, v[1:2]
	s_waitcnt lgkmcnt(0)
	s_barrier
	buffer_gl0_inv
	s_and_saveexec_b32 s16, s0
	s_cbranch_execnz .LBB67_50
; %bb.34:                               ;   in Loop: Header=BB67_33 Depth=1
	s_or_b32 exec_lo, exec_lo, s16
	s_and_saveexec_b32 s16, s1
	s_cbranch_execnz .LBB67_51
.LBB67_35:                              ;   in Loop: Header=BB67_33 Depth=1
	s_or_b32 exec_lo, exec_lo, s16
	s_and_saveexec_b32 s16, s2
	s_cbranch_execnz .LBB67_52
.LBB67_36:                              ;   in Loop: Header=BB67_33 Depth=1
	s_or_b32 exec_lo, exec_lo, s16
	s_and_saveexec_b32 s16, s3
	s_cbranch_execnz .LBB67_53
.LBB67_37:                              ;   in Loop: Header=BB67_33 Depth=1
	s_or_b32 exec_lo, exec_lo, s16
	s_and_saveexec_b32 s16, s4
	s_cbranch_execnz .LBB67_54
.LBB67_38:                              ;   in Loop: Header=BB67_33 Depth=1
	s_or_b32 exec_lo, exec_lo, s16
	s_and_saveexec_b32 s16, s5
	s_cbranch_execnz .LBB67_55
.LBB67_39:                              ;   in Loop: Header=BB67_33 Depth=1
	s_or_b32 exec_lo, exec_lo, s16
	s_and_saveexec_b32 s16, s6
	s_cbranch_execnz .LBB67_56
.LBB67_40:                              ;   in Loop: Header=BB67_33 Depth=1
	s_or_b32 exec_lo, exec_lo, s16
	s_and_saveexec_b32 s16, s7
	s_cbranch_execnz .LBB67_57
.LBB67_41:                              ;   in Loop: Header=BB67_33 Depth=1
	s_or_b32 exec_lo, exec_lo, s16
	s_and_saveexec_b32 s16, s8
	s_cbranch_execnz .LBB67_58
.LBB67_42:                              ;   in Loop: Header=BB67_33 Depth=1
	s_or_b32 exec_lo, exec_lo, s16
	s_and_saveexec_b32 s16, s9
	s_cbranch_execnz .LBB67_59
.LBB67_43:                              ;   in Loop: Header=BB67_33 Depth=1
	s_or_b32 exec_lo, exec_lo, s16
	s_and_saveexec_b32 s16, s10
	s_cbranch_execnz .LBB67_60
.LBB67_44:                              ;   in Loop: Header=BB67_33 Depth=1
	s_or_b32 exec_lo, exec_lo, s16
	s_and_saveexec_b32 s16, s11
	s_cbranch_execnz .LBB67_61
.LBB67_45:                              ;   in Loop: Header=BB67_33 Depth=1
	s_or_b32 exec_lo, exec_lo, s16
	s_and_saveexec_b32 s16, s12
	s_cbranch_execnz .LBB67_62
.LBB67_46:                              ;   in Loop: Header=BB67_33 Depth=1
	s_or_b32 exec_lo, exec_lo, s16
	s_and_saveexec_b32 s16, s13
	s_cbranch_execnz .LBB67_63
.LBB67_47:                              ;   in Loop: Header=BB67_33 Depth=1
	s_or_b32 exec_lo, exec_lo, s16
	s_and_saveexec_b32 s16, s14
	s_cbranch_execnz .LBB67_64
.LBB67_48:                              ;   in Loop: Header=BB67_33 Depth=1
	s_or_b32 exec_lo, exec_lo, s16
	v_ashrrev_i32_e32 v8, 31, v7
	s_and_saveexec_b32 s16, s15
	s_cbranch_execnz .LBB67_65
.LBB67_49:                              ;   in Loop: Header=BB67_33 Depth=1
	s_or_b32 exec_lo, exec_lo, s16
	s_and_saveexec_b32 s15, vcc_lo
	s_cbranch_execz .LBB67_32
	s_branch .LBB67_66
.LBB67_50:                              ;   in Loop: Header=BB67_33 Depth=1
	v_mov_b32_e32 v1, s19
	ds_read_b32 v1, v1
	s_waitcnt lgkmcnt(0)
	v_add_nc_u32_e32 v7, v1, v7
	s_or_b32 exec_lo, exec_lo, s16
	s_and_saveexec_b32 s16, s1
	s_cbranch_execz .LBB67_35
.LBB67_51:                              ;   in Loop: Header=BB67_33 Depth=1
	v_mov_b32_e32 v1, s24
	ds_read_b32 v1, v1
	s_waitcnt lgkmcnt(0)
	v_add_nc_u32_e32 v7, v7, v1
	s_or_b32 exec_lo, exec_lo, s16
	s_and_saveexec_b32 s16, s2
	s_cbranch_execz .LBB67_36
.LBB67_52:                              ;   in Loop: Header=BB67_33 Depth=1
	v_mov_b32_e32 v1, s25
	ds_read_b32 v1, v1
	s_waitcnt lgkmcnt(0)
	v_add_nc_u32_e32 v7, v7, v1
	s_or_b32 exec_lo, exec_lo, s16
	s_and_saveexec_b32 s16, s3
	s_cbranch_execz .LBB67_37
.LBB67_53:                              ;   in Loop: Header=BB67_33 Depth=1
	v_mov_b32_e32 v1, s26
	ds_read_b32 v1, v1
	s_waitcnt lgkmcnt(0)
	v_add_nc_u32_e32 v7, v7, v1
	s_or_b32 exec_lo, exec_lo, s16
	s_and_saveexec_b32 s16, s4
	s_cbranch_execz .LBB67_38
.LBB67_54:                              ;   in Loop: Header=BB67_33 Depth=1
	v_mov_b32_e32 v1, s27
	ds_read_b32 v1, v1
	s_waitcnt lgkmcnt(0)
	v_add_nc_u32_e32 v7, v7, v1
	s_or_b32 exec_lo, exec_lo, s16
	s_and_saveexec_b32 s16, s5
	s_cbranch_execz .LBB67_39
.LBB67_55:                              ;   in Loop: Header=BB67_33 Depth=1
	v_mov_b32_e32 v1, s28
	ds_read_b32 v1, v1
	s_waitcnt lgkmcnt(0)
	v_add_nc_u32_e32 v7, v7, v1
	s_or_b32 exec_lo, exec_lo, s16
	s_and_saveexec_b32 s16, s6
	s_cbranch_execz .LBB67_40
.LBB67_56:                              ;   in Loop: Header=BB67_33 Depth=1
	v_mov_b32_e32 v1, s29
	ds_read_b32 v1, v1
	s_waitcnt lgkmcnt(0)
	v_add_nc_u32_e32 v7, v7, v1
	s_or_b32 exec_lo, exec_lo, s16
	s_and_saveexec_b32 s16, s7
	s_cbranch_execz .LBB67_41
.LBB67_57:                              ;   in Loop: Header=BB67_33 Depth=1
	v_mov_b32_e32 v1, s33
	ds_read_b32 v1, v1
	s_waitcnt lgkmcnt(0)
	v_add_nc_u32_e32 v7, v7, v1
	s_or_b32 exec_lo, exec_lo, s16
	s_and_saveexec_b32 s16, s8
	s_cbranch_execz .LBB67_42
.LBB67_58:                              ;   in Loop: Header=BB67_33 Depth=1
	v_mov_b32_e32 v1, s36
	ds_read_b32 v1, v1
	s_waitcnt lgkmcnt(0)
	v_add_nc_u32_e32 v7, v7, v1
	s_or_b32 exec_lo, exec_lo, s16
	s_and_saveexec_b32 s16, s9
	s_cbranch_execz .LBB67_43
.LBB67_59:                              ;   in Loop: Header=BB67_33 Depth=1
	v_mov_b32_e32 v1, s37
	ds_read_b32 v1, v1
	s_waitcnt lgkmcnt(0)
	v_add_nc_u32_e32 v7, v7, v1
	s_or_b32 exec_lo, exec_lo, s16
	s_and_saveexec_b32 s16, s10
	s_cbranch_execz .LBB67_44
.LBB67_60:                              ;   in Loop: Header=BB67_33 Depth=1
	v_mov_b32_e32 v1, s38
	ds_read_b32 v1, v1
	s_waitcnt lgkmcnt(0)
	v_add_nc_u32_e32 v7, v7, v1
	s_or_b32 exec_lo, exec_lo, s16
	s_and_saveexec_b32 s16, s11
	s_cbranch_execz .LBB67_45
.LBB67_61:                              ;   in Loop: Header=BB67_33 Depth=1
	v_mov_b32_e32 v1, s40
	ds_read_b32 v1, v1
	s_waitcnt lgkmcnt(0)
	v_add_nc_u32_e32 v7, v7, v1
	s_or_b32 exec_lo, exec_lo, s16
	s_and_saveexec_b32 s16, s12
	s_cbranch_execz .LBB67_46
.LBB67_62:                              ;   in Loop: Header=BB67_33 Depth=1
	v_mov_b32_e32 v1, s41
	ds_read_b32 v1, v1
	s_waitcnt lgkmcnt(0)
	v_add_nc_u32_e32 v7, v7, v1
	s_or_b32 exec_lo, exec_lo, s16
	s_and_saveexec_b32 s16, s13
	s_cbranch_execz .LBB67_47
.LBB67_63:                              ;   in Loop: Header=BB67_33 Depth=1
	v_mov_b32_e32 v1, s42
	ds_read_b32 v1, v1
	s_waitcnt lgkmcnt(0)
	v_add_nc_u32_e32 v7, v7, v1
	s_or_b32 exec_lo, exec_lo, s16
	s_and_saveexec_b32 s16, s14
	s_cbranch_execz .LBB67_48
.LBB67_64:                              ;   in Loop: Header=BB67_33 Depth=1
	v_mov_b32_e32 v1, s43
	ds_read_b32 v1, v1
	s_waitcnt lgkmcnt(0)
	v_add_nc_u32_e32 v7, v7, v1
	s_or_b32 exec_lo, exec_lo, s16
	v_ashrrev_i32_e32 v8, 31, v7
	s_and_saveexec_b32 s16, s15
	s_cbranch_execz .LBB67_49
.LBB67_65:                              ;   in Loop: Header=BB67_33 Depth=1
	v_lshlrev_b32_e32 v1, 3, v3
	v_lshlrev_b32_e32 v14, 3, v7
	v_add_nc_u32_e32 v1, 0, v1
	v_add3_u32 v1, v1, v14, -8
	ds_write_b64 v1, v[5:6]
	s_or_b32 exec_lo, exec_lo, s16
	s_and_saveexec_b32 s15, vcc_lo
	s_cbranch_execz .LBB67_32
.LBB67_66:                              ;   in Loop: Header=BB67_33 Depth=1
	v_mov_b32_e32 v1, s39
	ds_write_b64 v1, v[7:8]
	s_branch .LBB67_32
.LBB67_67:
	s_or_b32 exec_lo, exec_lo, s17
	s_lshl_b64 s[0:1], s[22:23], 3
	v_mov_b32_e32 v1, 0
	s_add_u32 s0, s30, s0
	s_addc_u32 s1, s31, s1
	s_mov_b32 s6, exec_lo
	s_load_dwordx4 s[0:3], s[0:1], 0x0
	s_waitcnt lgkmcnt(0)
	s_sub_u32 s4, s2, s0
	s_subb_u32 s5, s3, s1
	v_cmpx_gt_i64_e64 s[4:5], v[0:1]
	s_cbranch_execz .LBB67_77
; %bb.68:
	s_sub_u32 s8, s0, s18
	s_subb_u32 s9, s1, 0
	s_and_b32 s6, s4, 7
	s_sub_u32 s0, s0, s2
	s_subb_u32 s1, s1, s3
	s_mov_b32 s7, 0
	v_cmp_lt_u64_e64 s12, s[0:1], -7
	s_and_b32 s2, s4, -8
	s_cmp_lg_u64 s[6:7], 0
	s_mov_b32 s3, s5
	s_cselect_b32 s13, -1, 0
	s_mov_b32 s14, s7
	s_branch .LBB67_70
.LBB67_69:                              ;   in Loop: Header=BB67_70 Depth=1
	v_add_co_u32 v0, vcc_lo, 0x400, v0
	v_lshlrev_b64 v[4:5], 3, v[4:5]
	v_add_co_ci_u32_e64 v1, null, 0, v1, vcc_lo
	s_waitcnt lgkmcnt(0)
	v_add_co_u32 v2, vcc_lo, v2, s18
	v_add_co_ci_u32_e64 v3, null, 0, v3, vcc_lo
	v_cmp_le_i64_e32 vcc_lo, s[4:5], v[0:1]
	v_add_co_u32 v4, s0, s34, v4
	v_add_co_ci_u32_e64 v5, null, s35, v5, s0
	s_or_b32 s14, vcc_lo, s14
	global_store_dwordx2 v[4:5], v[2:3], off
	s_andn2_b32 exec_lo, exec_lo, s14
	s_cbranch_execz .LBB67_77
.LBB67_70:                              ; =>This Loop Header: Depth=1
                                        ;     Child Loop BB67_72 Depth 2
                                        ;     Child Loop BB67_76 Depth 2
	v_lshl_add_u32 v2, v0, 3, 0
	v_mov_b32_e32 v4, s8
	v_mov_b32_e32 v5, s9
	s_andn2_b32 vcc_lo, exec_lo, s12
	s_mov_b64 s[0:1], 0
	ds_read_b64 v[2:3], v2
	s_cbranch_vccnz .LBB67_74
; %bb.71:                               ;   in Loop: Header=BB67_70 Depth=1
	v_mov_b32_e32 v4, s8
	v_mov_b32_e32 v5, s9
	s_mov_b64 s[10:11], 0
	s_mov_b32 s1, 0
.LBB67_72:                              ;   Parent Loop BB67_70 Depth=1
                                        ; =>  This Inner Loop Header: Depth=2
	v_mov_b32_e32 v18, s1
	s_add_u32 s10, s10, 8
	s_addc_u32 s11, s11, 0
	s_add_i32 s1, s1, 64
	s_cmp_eq_u64 s[2:3], s[10:11]
	ds_read2_b64 v[6:9], v18 offset1:1
	ds_read2_b64 v[10:13], v18 offset0:2 offset1:3
	ds_read2_b64 v[14:17], v18 offset0:4 offset1:5
	;; [unrolled: 1-line block ×3, first 2 shown]
	s_waitcnt lgkmcnt(3)
	v_cmp_gt_i64_e32 vcc_lo, v[2:3], v[6:7]
	v_cndmask_b32_e64 v6, 0, 1, vcc_lo
	v_cmp_gt_i64_e32 vcc_lo, v[2:3], v[8:9]
	v_cndmask_b32_e64 v7, 0, 1, vcc_lo
	s_waitcnt lgkmcnt(2)
	v_cmp_gt_i64_e32 vcc_lo, v[2:3], v[10:11]
	v_cndmask_b32_e64 v8, 0, 1, vcc_lo
	v_cmp_gt_i64_e32 vcc_lo, v[2:3], v[12:13]
	v_cndmask_b32_e64 v9, 0, 1, vcc_lo
	s_waitcnt lgkmcnt(1)
	v_cmp_gt_i64_e32 vcc_lo, v[2:3], v[14:15]
	v_cndmask_b32_e64 v10, 0, 1, vcc_lo
	v_add_co_u32 v4, vcc_lo, v4, v6
	v_add_co_ci_u32_e64 v5, null, 0, v5, vcc_lo
	v_cmp_gt_i64_e32 vcc_lo, v[2:3], v[16:17]
	v_add_co_u32 v4, s0, v4, v7
	v_add_co_ci_u32_e64 v5, null, 0, v5, s0
	v_cndmask_b32_e64 v6, 0, 1, vcc_lo
	v_add_co_u32 v4, vcc_lo, v4, v8
	v_add_co_ci_u32_e64 v5, null, 0, v5, vcc_lo
	s_waitcnt lgkmcnt(0)
	v_cmp_gt_i64_e32 vcc_lo, v[2:3], v[18:19]
	v_add_co_u32 v4, s0, v4, v9
	v_add_co_ci_u32_e64 v5, null, 0, v5, s0
	v_cndmask_b32_e64 v7, 0, 1, vcc_lo
	v_add_co_u32 v4, vcc_lo, v4, v10
	v_add_co_ci_u32_e64 v5, null, 0, v5, vcc_lo
	v_cmp_gt_i64_e32 vcc_lo, v[2:3], v[20:21]
	v_add_co_u32 v4, s0, v4, v6
	v_add_co_ci_u32_e64 v5, null, 0, v5, s0
	v_cndmask_b32_e64 v6, 0, 1, vcc_lo
	v_add_co_u32 v4, vcc_lo, v4, v7
	v_add_co_ci_u32_e64 v5, null, 0, v5, vcc_lo
	v_add_co_u32 v4, vcc_lo, v4, v6
	v_add_co_ci_u32_e64 v5, null, 0, v5, vcc_lo
	s_cbranch_scc0 .LBB67_72
; %bb.73:                               ;   in Loop: Header=BB67_70 Depth=1
	s_mov_b64 s[0:1], s[2:3]
.LBB67_74:                              ;   in Loop: Header=BB67_70 Depth=1
	s_andn2_b32 vcc_lo, exec_lo, s13
	s_cbranch_vccnz .LBB67_69
; %bb.75:                               ;   in Loop: Header=BB67_70 Depth=1
	s_lshl_b32 s0, s0, 3
	s_add_i32 s10, s0, 0
	s_mov_b64 s[0:1], s[6:7]
.LBB67_76:                              ;   Parent Loop BB67_70 Depth=1
                                        ; =>  This Inner Loop Header: Depth=2
	v_mov_b32_e32 v6, s10
	s_add_i32 s10, s10, 8
	s_add_u32 s0, s0, -1
	s_addc_u32 s1, s1, -1
	s_cmp_lg_u64 s[0:1], 0
	ds_read_b64 v[6:7], v6
	s_waitcnt lgkmcnt(0)
	v_cmp_gt_i64_e32 vcc_lo, v[2:3], v[6:7]
	v_cndmask_b32_e64 v6, 0, 1, vcc_lo
	v_add_co_u32 v4, vcc_lo, v4, v6
	v_add_co_ci_u32_e64 v5, null, 0, v5, vcc_lo
	s_cbranch_scc1 .LBB67_76
	s_branch .LBB67_69
.LBB67_77:
	s_endpgm
	.section	.rodata,"a",@progbits
	.p2align	6, 0x0
	.amdhsa_kernel _ZN9rocsparseL35csrgemm_symbolic_fill_block_per_rowILj1024ELj64ELj32768ELj137ELj64EllEEvT5_PKS1_S3_PKT4_S3_S6_S3_S6_S3_S6_PS1_21rocsparse_index_base_S8_S8_S8_bb
		.amdhsa_group_segment_fixed_size 0
		.amdhsa_private_segment_fixed_size 0
		.amdhsa_kernarg_size 108
		.amdhsa_user_sgpr_count 6
		.amdhsa_user_sgpr_private_segment_buffer 1
		.amdhsa_user_sgpr_dispatch_ptr 0
		.amdhsa_user_sgpr_queue_ptr 0
		.amdhsa_user_sgpr_kernarg_segment_ptr 1
		.amdhsa_user_sgpr_dispatch_id 0
		.amdhsa_user_sgpr_flat_scratch_init 0
		.amdhsa_user_sgpr_private_segment_size 0
		.amdhsa_wavefront_size32 1
		.amdhsa_uses_dynamic_stack 0
		.amdhsa_system_sgpr_private_segment_wavefront_offset 0
		.amdhsa_system_sgpr_workgroup_id_x 1
		.amdhsa_system_sgpr_workgroup_id_y 0
		.amdhsa_system_sgpr_workgroup_id_z 0
		.amdhsa_system_sgpr_workgroup_info 0
		.amdhsa_system_vgpr_workitem_id 0
		.amdhsa_next_free_vgpr 22
		.amdhsa_next_free_sgpr 44
		.amdhsa_reserve_vcc 1
		.amdhsa_reserve_flat_scratch 0
		.amdhsa_float_round_mode_32 0
		.amdhsa_float_round_mode_16_64 0
		.amdhsa_float_denorm_mode_32 3
		.amdhsa_float_denorm_mode_16_64 3
		.amdhsa_dx10_clamp 1
		.amdhsa_ieee_mode 1
		.amdhsa_fp16_overflow 0
		.amdhsa_workgroup_processor_mode 1
		.amdhsa_memory_ordered 1
		.amdhsa_forward_progress 1
		.amdhsa_shared_vgpr_count 0
		.amdhsa_exception_fp_ieee_invalid_op 0
		.amdhsa_exception_fp_denorm_src 0
		.amdhsa_exception_fp_ieee_div_zero 0
		.amdhsa_exception_fp_ieee_overflow 0
		.amdhsa_exception_fp_ieee_underflow 0
		.amdhsa_exception_fp_ieee_inexact 0
		.amdhsa_exception_int_div_zero 0
	.end_amdhsa_kernel
	.section	.text._ZN9rocsparseL35csrgemm_symbolic_fill_block_per_rowILj1024ELj64ELj32768ELj137ELj64EllEEvT5_PKS1_S3_PKT4_S3_S6_S3_S6_S3_S6_PS1_21rocsparse_index_base_S8_S8_S8_bb,"axG",@progbits,_ZN9rocsparseL35csrgemm_symbolic_fill_block_per_rowILj1024ELj64ELj32768ELj137ELj64EllEEvT5_PKS1_S3_PKT4_S3_S6_S3_S6_S3_S6_PS1_21rocsparse_index_base_S8_S8_S8_bb,comdat
.Lfunc_end67:
	.size	_ZN9rocsparseL35csrgemm_symbolic_fill_block_per_rowILj1024ELj64ELj32768ELj137ELj64EllEEvT5_PKS1_S3_PKT4_S3_S6_S3_S6_S3_S6_PS1_21rocsparse_index_base_S8_S8_S8_bb, .Lfunc_end67-_ZN9rocsparseL35csrgemm_symbolic_fill_block_per_rowILj1024ELj64ELj32768ELj137ELj64EllEEvT5_PKS1_S3_PKT4_S3_S6_S3_S6_S3_S6_PS1_21rocsparse_index_base_S8_S8_S8_bb
                                        ; -- End function
	.set _ZN9rocsparseL35csrgemm_symbolic_fill_block_per_rowILj1024ELj64ELj32768ELj137ELj64EllEEvT5_PKS1_S3_PKT4_S3_S6_S3_S6_S3_S6_PS1_21rocsparse_index_base_S8_S8_S8_bb.num_vgpr, 22
	.set _ZN9rocsparseL35csrgemm_symbolic_fill_block_per_rowILj1024ELj64ELj32768ELj137ELj64EllEEvT5_PKS1_S3_PKT4_S3_S6_S3_S6_S3_S6_PS1_21rocsparse_index_base_S8_S8_S8_bb.num_agpr, 0
	.set _ZN9rocsparseL35csrgemm_symbolic_fill_block_per_rowILj1024ELj64ELj32768ELj137ELj64EllEEvT5_PKS1_S3_PKT4_S3_S6_S3_S6_S3_S6_PS1_21rocsparse_index_base_S8_S8_S8_bb.numbered_sgpr, 44
	.set _ZN9rocsparseL35csrgemm_symbolic_fill_block_per_rowILj1024ELj64ELj32768ELj137ELj64EllEEvT5_PKS1_S3_PKT4_S3_S6_S3_S6_S3_S6_PS1_21rocsparse_index_base_S8_S8_S8_bb.num_named_barrier, 0
	.set _ZN9rocsparseL35csrgemm_symbolic_fill_block_per_rowILj1024ELj64ELj32768ELj137ELj64EllEEvT5_PKS1_S3_PKT4_S3_S6_S3_S6_S3_S6_PS1_21rocsparse_index_base_S8_S8_S8_bb.private_seg_size, 0
	.set _ZN9rocsparseL35csrgemm_symbolic_fill_block_per_rowILj1024ELj64ELj32768ELj137ELj64EllEEvT5_PKS1_S3_PKT4_S3_S6_S3_S6_S3_S6_PS1_21rocsparse_index_base_S8_S8_S8_bb.uses_vcc, 1
	.set _ZN9rocsparseL35csrgemm_symbolic_fill_block_per_rowILj1024ELj64ELj32768ELj137ELj64EllEEvT5_PKS1_S3_PKT4_S3_S6_S3_S6_S3_S6_PS1_21rocsparse_index_base_S8_S8_S8_bb.uses_flat_scratch, 0
	.set _ZN9rocsparseL35csrgemm_symbolic_fill_block_per_rowILj1024ELj64ELj32768ELj137ELj64EllEEvT5_PKS1_S3_PKT4_S3_S6_S3_S6_S3_S6_PS1_21rocsparse_index_base_S8_S8_S8_bb.has_dyn_sized_stack, 0
	.set _ZN9rocsparseL35csrgemm_symbolic_fill_block_per_rowILj1024ELj64ELj32768ELj137ELj64EllEEvT5_PKS1_S3_PKT4_S3_S6_S3_S6_S3_S6_PS1_21rocsparse_index_base_S8_S8_S8_bb.has_recursion, 0
	.set _ZN9rocsparseL35csrgemm_symbolic_fill_block_per_rowILj1024ELj64ELj32768ELj137ELj64EllEEvT5_PKS1_S3_PKT4_S3_S6_S3_S6_S3_S6_PS1_21rocsparse_index_base_S8_S8_S8_bb.has_indirect_call, 0
	.section	.AMDGPU.csdata,"",@progbits
; Kernel info:
; codeLenInByte = 3256
; TotalNumSgprs: 46
; NumVgprs: 22
; ScratchSize: 0
; MemoryBound: 0
; FloatMode: 240
; IeeeMode: 1
; LDSByteSize: 0 bytes/workgroup (compile time only)
; SGPRBlocks: 0
; VGPRBlocks: 2
; NumSGPRsForWavesPerEU: 46
; NumVGPRsForWavesPerEU: 22
; Occupancy: 16
; WaveLimiterHint : 1
; COMPUTE_PGM_RSRC2:SCRATCH_EN: 0
; COMPUTE_PGM_RSRC2:USER_SGPR: 6
; COMPUTE_PGM_RSRC2:TRAP_HANDLER: 0
; COMPUTE_PGM_RSRC2:TGID_X_EN: 1
; COMPUTE_PGM_RSRC2:TGID_Y_EN: 0
; COMPUTE_PGM_RSRC2:TGID_Z_EN: 0
; COMPUTE_PGM_RSRC2:TIDIG_COMP_CNT: 0
	.section	.text._ZN9rocsparseL45csrgemm_symbolic_fill_block_per_row_multipassILj512ELj16ELj2048ELj32EllEEvT4_PKS1_S3_PKT3_S3_S6_S3_S6_S3_S6_PS1_PS4_21rocsparse_index_base_S9_S9_S9_bb,"axG",@progbits,_ZN9rocsparseL45csrgemm_symbolic_fill_block_per_row_multipassILj512ELj16ELj2048ELj32EllEEvT4_PKS1_S3_PKT3_S3_S6_S3_S6_S3_S6_PS1_PS4_21rocsparse_index_base_S9_S9_S9_bb,comdat
	.globl	_ZN9rocsparseL45csrgemm_symbolic_fill_block_per_row_multipassILj512ELj16ELj2048ELj32EllEEvT4_PKS1_S3_PKT3_S3_S6_S3_S6_S3_S6_PS1_PS4_21rocsparse_index_base_S9_S9_S9_bb ; -- Begin function _ZN9rocsparseL45csrgemm_symbolic_fill_block_per_row_multipassILj512ELj16ELj2048ELj32EllEEvT4_PKS1_S3_PKT3_S3_S6_S3_S6_S3_S6_PS1_PS4_21rocsparse_index_base_S9_S9_S9_bb
	.p2align	8
	.type	_ZN9rocsparseL45csrgemm_symbolic_fill_block_per_row_multipassILj512ELj16ELj2048ELj32EllEEvT4_PKS1_S3_PKT3_S3_S6_S3_S6_S3_S6_PS1_PS4_21rocsparse_index_base_S9_S9_S9_bb,@function
_ZN9rocsparseL45csrgemm_symbolic_fill_block_per_row_multipassILj512ELj16ELj2048ELj32EllEEvT4_PKS1_S3_PKT3_S3_S6_S3_S6_S3_S6_PS1_PS4_21rocsparse_index_base_S9_S9_S9_bb: ; @_ZN9rocsparseL45csrgemm_symbolic_fill_block_per_row_multipassILj512ELj16ELj2048ELj32EllEEvT4_PKS1_S3_PKT3_S3_S6_S3_S6_S3_S6_PS1_PS4_21rocsparse_index_base_S9_S9_S9_bb
; %bb.0:
	s_clause 0x2
	s_load_dwordx4 s[12:15], s[4:5], 0x8
	s_load_dword s8, s[4:5], 0x70
	s_load_dwordx2 s[0:1], s[4:5], 0x18
	s_mov_b32 s7, 0
	s_mov_b64 s[22:23], 0
	s_waitcnt lgkmcnt(0)
	s_load_dwordx2 s[2:3], s[12:13], 0x0
	s_load_dwordx4 s[44:47], s[4:5], 0x60
	s_bitcmp1_b32 s8, 0
	s_cselect_b32 s18, -1, 0
	s_waitcnt lgkmcnt(0)
	s_lshl_b64 s[2:3], s[2:3], 3
	s_add_u32 s9, s14, s2
	s_addc_u32 s10, s15, s3
	s_lshl_b64 s[2:3], s[6:7], 3
	s_mov_b64 s[6:7], 0
	s_add_u32 s2, s9, s2
	s_addc_u32 s3, s10, s3
	s_bitcmp0_b32 s8, 0
	s_load_dwordx2 s[2:3], s[2:3], 0x0
	s_cbranch_scc0 .LBB68_3
; %bb.1:
	s_andn2_b32 vcc_lo, exec_lo, s18
	s_cbranch_vccz .LBB68_4
.LBB68_2:
	s_load_dwordx2 s[34:35], s[4:5], 0x0
	s_waitcnt lgkmcnt(0)
	v_cmp_lt_i64_e64 s0, s[34:35], 1
	s_and_b32 vcc_lo, exec_lo, s0
	s_cbranch_vccz .LBB68_5
	s_branch .LBB68_65
.LBB68_3:
	s_waitcnt lgkmcnt(0)
	s_lshl_b64 s[6:7], s[2:3], 3
	s_add_u32 s6, s0, s6
	s_addc_u32 s7, s1, s7
	s_load_dwordx2 s[6:7], s[6:7], 0x0
	s_waitcnt lgkmcnt(0)
	s_sub_u32 s6, s6, s44
	s_subb_u32 s7, s7, 0
	s_andn2_b32 vcc_lo, exec_lo, s18
	s_cbranch_vccnz .LBB68_2
.LBB68_4:
	s_waitcnt lgkmcnt(0)
	s_lshl_b64 s[10:11], s[2:3], 3
	s_add_u32 s0, s0, s10
	s_addc_u32 s1, s1, s11
	s_load_dwordx2 s[0:1], s[0:1], 0x8
	s_waitcnt lgkmcnt(0)
	s_sub_u32 s22, s0, s44
	s_subb_u32 s23, s1, 0
	s_load_dwordx2 s[34:35], s[4:5], 0x0
	s_waitcnt lgkmcnt(0)
	v_cmp_lt_i64_e64 s0, s[34:35], 1
	s_and_b32 vcc_lo, exec_lo, s0
	s_cbranch_vccnz .LBB68_65
.LBB68_5:
	s_clause 0x1
	s_load_dwordx8 s[24:31], s[4:5], 0x40
	s_load_dwordx8 s[36:43], s[4:5], 0x20
	v_mbcnt_lo_u32_b32 v3, -1, 0
	s_bitcmp1_b32 s8, 8
	v_lshrrev_b32_e32 v1, 4, v0
	s_mov_b32 s33, s45
	s_cselect_b32 s45, -1, 0
	s_lshl_b64 s[4:5], s[2:3], 3
	v_xor_b32_e32 v5, 8, v3
	v_sub_co_u32 v29, s1, v0, s47
	v_sub_co_ci_u32_e64 v30, null, 0, 0, s1
	v_add_co_u32 v1, s1, s6, v1
	v_add_co_ci_u32_e64 v2, null, s7, 0, s1
	v_xor_b32_e32 v6, 4, v3
	v_xor_b32_e32 v7, 2, v3
	;; [unrolled: 1-line block ×3, first 2 shown]
	s_waitcnt lgkmcnt(0)
	s_add_u32 s2, s26, s4
	s_addc_u32 s3, s27, s5
	v_lshrrev_b32_e32 v4, 3, v0
	s_load_dwordx2 s[6:7], s[2:3], 0x0
	v_cmp_gt_i32_e64 s2, 32, v5
	v_xor_b32_e32 v9, 31, v3
	v_and_b32_e32 v27, 15, v0
	v_cmp_gt_i64_e32 vcc_lo, s[22:23], v[1:2]
	v_add_co_u32 v37, s19, v0, s46
	v_cndmask_b32_e64 v5, v3, v5, s2
	v_cmp_gt_i32_e64 s2, 32, v6
	v_and_b32_e32 v36, 60, v4
	v_cmp_eq_u32_e64 s0, 0, v0
	v_mov_b32_e32 v28, 0
	v_lshlrev_b32_e32 v32, 2, v5
	v_cndmask_b32_e64 v6, v3, v6, s2
	v_cmp_gt_i32_e64 s2, 32, v7
	v_cmp_eq_u32_e64 s1, 15, v27
	v_lshrrev_b32_e64 v31, v9, -1
	v_cmp_gt_u32_e64 s3, 32, v0
	v_lshlrev_b32_e32 v33, 2, v6
	v_cndmask_b32_e64 v7, v3, v7, s2
	v_cmp_gt_i32_e64 s2, 32, v8
	s_waitcnt lgkmcnt(0)
	s_sub_u32 s20, s6, s46
	s_subb_u32 s21, s7, 0
	s_add_u32 s26, s42, s4
	v_lshlrev_b32_e32 v34, 2, v7
	v_cndmask_b32_e64 v3, v3, v8, s2
	v_mov_b32_e32 v5, 0
	v_mov_b32_e32 v7, 0x800
	s_addc_u32 s27, s43, s5
	v_cmp_eq_u32_e64 s2, 0x1ff, v0
	v_lshlrev_b32_e32 v35, 2, v3
	v_mov_b32_e32 v3, s20
	v_cmp_gt_u32_e64 s4, 64, v0
	v_cmp_gt_u32_e64 s5, 0x60, v0
	;; [unrolled: 1-line block ×14, first 2 shown]
	v_add_co_ci_u32_e64 v38, null, 0, 0, s19
	v_or_b32_e32 v39, 0xfffffe00, v0
	v_mov_b32_e32 v6, 0
	v_mov_b32_e32 v8, 0
	v_mov_b32_e32 v4, s21
	v_mov_b32_e32 v40, 1
	s_mov_b32 s42, s47
	s_and_b32 s43, s18, vcc_lo
	s_mov_b32 s46, -1
	s_branch .LBB68_7
.LBB68_6:                               ;   in Loop: Header=BB68_7 Depth=1
	s_or_b32 exec_lo, exec_lo, s19
	ds_read_b64 v[5:6], v28 offset:10240
	s_waitcnt lgkmcnt(0)
	s_barrier
	buffer_gl0_inv
	v_cmp_le_i64_e32 vcc_lo, s[34:35], v[5:6]
	v_add_co_u32 v7, s18, 0x800, v5
	v_add_co_ci_u32_e64 v8, null, 0, v6, s18
	s_cbranch_vccnz .LBB68_65
.LBB68_7:                               ; =>This Loop Header: Depth=1
                                        ;     Child Loop BB68_16 Depth 2
                                        ;       Child Loop BB68_24 Depth 3
                                        ;     Child Loop BB68_44 Depth 2
                                        ;     Child Loop BB68_56 Depth 2
	;; [unrolled: 1-line block ×3, first 2 shown]
	s_and_saveexec_b32 s18, s46
	s_cbranch_execnz .LBB68_35
; %bb.8:                                ;   in Loop: Header=BB68_7 Depth=1
	s_or_b32 exec_lo, exec_lo, s18
	s_and_saveexec_b32 s18, s46
	s_cbranch_execnz .LBB68_36
.LBB68_9:                               ;   in Loop: Header=BB68_7 Depth=1
	s_or_b32 exec_lo, exec_lo, s18
	s_and_saveexec_b32 s18, s46
	s_cbranch_execnz .LBB68_37
.LBB68_10:                              ;   in Loop: Header=BB68_7 Depth=1
	s_or_b32 exec_lo, exec_lo, s18
	s_and_saveexec_b32 s18, s46
	s_cbranch_execnz .LBB68_38
.LBB68_11:                              ;   in Loop: Header=BB68_7 Depth=1
	s_or_b32 exec_lo, exec_lo, s18
	s_and_saveexec_b32 s18, s0
.LBB68_12:                              ;   in Loop: Header=BB68_7 Depth=1
	v_mov_b32_e32 v9, s34
	v_mov_b32_e32 v10, s35
	ds_write_b64 v28, v[9:10] offset:10240
.LBB68_13:                              ;   in Loop: Header=BB68_7 Depth=1
	s_or_b32 exec_lo, exec_lo, s18
	v_mov_b32_e32 v9, s34
	v_mov_b32_e32 v10, s35
	s_waitcnt lgkmcnt(0)
	s_barrier
	buffer_gl0_inv
	s_and_saveexec_b32 s21, s43
	s_cbranch_execz .LBB68_40
; %bb.14:                               ;   in Loop: Header=BB68_7 Depth=1
	v_cmp_ne_u64_e64 s18, 0, v[5:6]
	v_mov_b32_e32 v9, s34
	v_mov_b32_e32 v12, v2
	;; [unrolled: 1-line block ×4, first 2 shown]
	s_mov_b32 s47, 0
	s_branch .LBB68_16
.LBB68_15:                              ;   in Loop: Header=BB68_16 Depth=2
	s_or_b32 exec_lo, exec_lo, s20
	v_add_co_u32 v11, vcc_lo, v11, 32
	v_add_co_ci_u32_e64 v12, null, 0, v12, vcc_lo
	v_cmp_le_i64_e32 vcc_lo, s[22:23], v[11:12]
	s_or_b32 s47, vcc_lo, s47
	s_andn2_b32 exec_lo, exec_lo, s47
	s_cbranch_execz .LBB68_39
.LBB68_16:                              ;   Parent Loop BB68_7 Depth=1
                                        ; =>  This Loop Header: Depth=2
                                        ;       Child Loop BB68_24 Depth 3
	v_lshlrev_b64 v[13:14], 3, v[11:12]
	v_add_co_u32 v15, vcc_lo, s36, v13
	v_add_co_ci_u32_e64 v16, null, s37, v14, vcc_lo
	s_and_b32 vcc_lo, exec_lo, s18
	s_waitcnt lgkmcnt(0)
	global_load_dwordx2 v[17:18], v[15:16], off
	s_cbranch_vccz .LBB68_18
; %bb.17:                               ;   in Loop: Header=BB68_16 Depth=2
	v_add_co_u32 v15, vcc_lo, s30, v13
	v_add_co_ci_u32_e64 v16, null, s31, v14, vcc_lo
	s_mov_b32 s19, 0
	global_load_dwordx2 v[15:16], v[15:16], off
	s_branch .LBB68_19
.LBB68_18:                              ;   in Loop: Header=BB68_16 Depth=2
	s_mov_b32 s19, -1
                                        ; implicit-def: $vgpr15_vgpr16
.LBB68_19:                              ;   in Loop: Header=BB68_16 Depth=2
	s_waitcnt vmcnt(0)
	v_sub_co_u32 v17, vcc_lo, v17, s44
	v_subrev_co_ci_u32_e64 v18, null, 0, v18, vcc_lo
	s_andn2_b32 vcc_lo, exec_lo, s19
	v_lshlrev_b64 v[17:18], 3, v[17:18]
	s_cbranch_vccnz .LBB68_21
; %bb.20:                               ;   in Loop: Header=BB68_16 Depth=2
	v_add_co_u32 v15, vcc_lo, s38, v17
	v_add_co_ci_u32_e64 v16, null, s39, v18, vcc_lo
	global_load_dwordx2 v[15:16], v[15:16], off
	s_waitcnt vmcnt(0)
	v_sub_co_u32 v15, vcc_lo, v15, s33
	v_subrev_co_ci_u32_e64 v16, null, 0, v16, vcc_lo
.LBB68_21:                              ;   in Loop: Header=BB68_16 Depth=2
	v_add_co_u32 v17, vcc_lo, s38, v17
	v_add_co_ci_u32_e64 v18, null, s39, v18, vcc_lo
	s_mov_b32 s48, exec_lo
	global_load_dwordx2 v[17:18], v[17:18], off offset:8
	s_waitcnt vmcnt(0)
	v_sub_co_u32 v17, vcc_lo, v17, s33
	v_subrev_co_ci_u32_e64 v18, null, 0, v18, vcc_lo
	v_add_co_u32 v15, vcc_lo, v15, v27
	v_add_co_ci_u32_e64 v16, null, 0, v16, vcc_lo
	v_cmpx_lt_i64_e64 v[15:16], v[17:18]
	s_cbranch_execz .LBB68_33
; %bb.22:                               ;   in Loop: Header=BB68_16 Depth=2
	v_lshlrev_b64 v[19:20], 3, v[15:16]
	v_mov_b32_e32 v26, v16
	v_mov_b32_e32 v25, v15
	s_mov_b32 s50, 0
                                        ; implicit-def: $sgpr49
                                        ; implicit-def: $sgpr51
	v_add_co_u32 v19, vcc_lo, s40, v19
	v_add_co_ci_u32_e64 v20, null, s41, v20, vcc_lo
	s_branch .LBB68_24
.LBB68_23:                              ;   in Loop: Header=BB68_24 Depth=3
	s_or_b32 exec_lo, exec_lo, s20
	s_and_b32 s19, exec_lo, s52
	s_or_b32 s50, s19, s50
	s_andn2_b32 s19, s49, exec_lo
	s_and_b32 s20, s51, exec_lo
	s_or_b32 s49, s19, s20
	s_andn2_b32 exec_lo, exec_lo, s50
	s_cbranch_execz .LBB68_30
.LBB68_24:                              ;   Parent Loop BB68_7 Depth=1
                                        ;     Parent Loop BB68_16 Depth=2
                                        ; =>    This Inner Loop Header: Depth=3
	global_load_dwordx2 v[21:22], v[19:20], off
	v_mov_b32_e32 v23, v25
	v_mov_b32_e32 v24, v26
	s_waitcnt vmcnt(0)
	v_sub_co_u32 v21, vcc_lo, v21, s33
	v_subrev_co_ci_u32_e64 v22, null, 0, v22, vcc_lo
	v_cmp_lt_i64_e64 s19, v[21:22], v[5:6]
	v_cmp_ge_i64_e64 s20, v[21:22], v[7:8]
	v_cmp_lt_i64_e32 vcc_lo, v[21:22], v[7:8]
	s_or_b32 s20, s19, s20
	s_mov_b32 s19, 0
	s_and_saveexec_b32 s52, s20
	s_xor_b32 s20, exec_lo, s52
; %bb.25:                               ;   in Loop: Header=BB68_24 Depth=3
	s_and_b32 s19, vcc_lo, exec_lo
; %bb.26:                               ;   in Loop: Header=BB68_24 Depth=3
	s_andn2_saveexec_b32 s20, s20
; %bb.27:                               ;   in Loop: Header=BB68_24 Depth=3
	v_sub_nc_u32_e32 v25, v21, v5
	s_or_b32 s19, s19, exec_lo
	ds_write_b8 v25, v40 offset:8192
; %bb.28:                               ;   in Loop: Header=BB68_24 Depth=3
	s_or_b32 exec_lo, exec_lo, s20
	s_mov_b32 s52, -1
	s_or_b32 s51, s51, exec_lo
                                        ; implicit-def: $vgpr25_vgpr26
	s_and_saveexec_b32 s20, s19
	s_cbranch_execz .LBB68_23
; %bb.29:                               ;   in Loop: Header=BB68_24 Depth=3
	v_add_co_u32 v25, vcc_lo, v23, 16
	v_add_co_ci_u32_e64 v26, null, 0, v24, vcc_lo
	v_add_co_u32 v19, s19, 0x80, v19
	v_add_co_ci_u32_e64 v20, null, 0, v20, s19
	v_cmp_ge_i64_e32 vcc_lo, v[25:26], v[17:18]
	s_andn2_b32 s51, s51, exec_lo
	s_orn2_b32 s52, vcc_lo, exec_lo
	s_branch .LBB68_23
.LBB68_30:                              ;   in Loop: Header=BB68_16 Depth=2
	s_or_b32 exec_lo, exec_lo, s50
	s_and_saveexec_b32 s19, s49
	s_xor_b32 s19, exec_lo, s19
; %bb.31:                               ;   in Loop: Header=BB68_16 Depth=2
	v_cmp_lt_i64_e32 vcc_lo, v[21:22], v[9:10]
	v_mov_b32_e32 v15, v23
	v_mov_b32_e32 v16, v24
	v_cndmask_b32_e32 v10, v10, v22, vcc_lo
	v_cndmask_b32_e32 v9, v9, v21, vcc_lo
; %bb.32:                               ;   in Loop: Header=BB68_16 Depth=2
	s_or_b32 exec_lo, exec_lo, s19
.LBB68_33:                              ;   in Loop: Header=BB68_16 Depth=2
	s_or_b32 exec_lo, exec_lo, s48
	ds_bpermute_b32 v17, v32, v15
	ds_bpermute_b32 v18, v32, v16
	s_waitcnt lgkmcnt(0)
	v_cmp_lt_i64_e32 vcc_lo, v[17:18], v[15:16]
	v_cndmask_b32_e32 v16, v16, v18, vcc_lo
	v_cndmask_b32_e32 v15, v15, v17, vcc_lo
	ds_bpermute_b32 v18, v33, v16
	ds_bpermute_b32 v17, v33, v15
	s_waitcnt lgkmcnt(0)
	v_cmp_lt_i64_e32 vcc_lo, v[17:18], v[15:16]
	v_cndmask_b32_e32 v16, v16, v18, vcc_lo
	v_cndmask_b32_e32 v15, v15, v17, vcc_lo
	;; [unrolled: 6-line block ×3, first 2 shown]
	ds_bpermute_b32 v19, v35, v16
	ds_bpermute_b32 v17, v35, v15
	s_and_saveexec_b32 s20, s1
	s_cbranch_execz .LBB68_15
; %bb.34:                               ;   in Loop: Header=BB68_16 Depth=2
	s_waitcnt lgkmcnt(1)
	v_mov_b32_e32 v18, v19
	v_add_co_u32 v13, s19, s30, v13
	v_add_co_ci_u32_e64 v14, null, s31, v14, s19
	s_waitcnt lgkmcnt(0)
	v_cmp_lt_i64_e32 vcc_lo, v[17:18], v[15:16]
	v_cndmask_b32_e32 v16, v16, v19, vcc_lo
	v_cndmask_b32_e32 v15, v15, v17, vcc_lo
	global_store_dwordx2 v[13:14], v[15:16], off
	s_branch .LBB68_15
.LBB68_35:                              ;   in Loop: Header=BB68_7 Depth=1
	ds_write_b8 v0, v28 offset:8192
	s_or_b32 exec_lo, exec_lo, s18
	s_and_saveexec_b32 s18, s46
	s_cbranch_execz .LBB68_9
.LBB68_36:                              ;   in Loop: Header=BB68_7 Depth=1
	ds_write_b8 v0, v28 offset:8704
	s_or_b32 exec_lo, exec_lo, s18
	s_and_saveexec_b32 s18, s46
	s_cbranch_execz .LBB68_10
.LBB68_37:                              ;   in Loop: Header=BB68_7 Depth=1
	ds_write_b8 v0, v28 offset:9216
	s_or_b32 exec_lo, exec_lo, s18
	s_and_saveexec_b32 s18, s46
	s_cbranch_execz .LBB68_11
.LBB68_38:                              ;   in Loop: Header=BB68_7 Depth=1
	ds_write_b8 v0, v28 offset:9728
	s_or_b32 exec_lo, exec_lo, s18
	s_and_saveexec_b32 s18, s0
	s_cbranch_execnz .LBB68_12
	s_branch .LBB68_13
.LBB68_39:                              ;   in Loop: Header=BB68_7 Depth=1
	s_or_b32 exec_lo, exec_lo, s47
.LBB68_40:                              ;   in Loop: Header=BB68_7 Depth=1
	s_or_b32 exec_lo, exec_lo, s21
	s_andn2_b32 vcc_lo, exec_lo, s45
	s_cbranch_vccnz .LBB68_54
; %bb.41:                               ;   in Loop: Header=BB68_7 Depth=1
	s_load_dwordx4 s[48:51], s[26:27], 0x0
	s_mov_b32 s47, exec_lo
	s_waitcnt lgkmcnt(0)
	v_add_co_u32 v11, vcc_lo, s48, v29
	v_add_co_ci_u32_e64 v12, null, s49, v30, vcc_lo
	s_sub_u32 s20, s50, s42
	s_subb_u32 s21, s51, 0
	v_cmpx_gt_i64_e64 s[20:21], v[11:12]
	s_cbranch_execz .LBB68_53
; %bb.42:                               ;   in Loop: Header=BB68_7 Depth=1
	v_lshlrev_b64 v[13:14], 3, v[11:12]
	s_mov_b32 s48, 0
                                        ; implicit-def: $sgpr49
                                        ; implicit-def: $sgpr50
	v_add_co_u32 v13, vcc_lo, s24, v13
	v_add_co_ci_u32_e64 v14, null, s25, v14, vcc_lo
	s_branch .LBB68_44
.LBB68_43:                              ;   in Loop: Header=BB68_44 Depth=2
	s_or_b32 exec_lo, exec_lo, s19
	s_and_b32 s18, exec_lo, s51
	s_or_b32 s48, s18, s48
	s_andn2_b32 s18, s49, exec_lo
	s_and_b32 s19, s50, exec_lo
	s_or_b32 s49, s18, s19
	s_andn2_b32 exec_lo, exec_lo, s48
	s_cbranch_execz .LBB68_50
.LBB68_44:                              ;   Parent Loop BB68_7 Depth=1
                                        ; =>  This Inner Loop Header: Depth=2
	global_load_dwordx2 v[15:16], v[13:14], off
	s_waitcnt vmcnt(0)
	v_sub_co_u32 v15, vcc_lo, v15, s42
	v_subrev_co_ci_u32_e64 v16, null, 0, v16, vcc_lo
	v_cmp_lt_i64_e64 s18, v[15:16], v[5:6]
	v_cmp_ge_i64_e64 s19, v[15:16], v[7:8]
	v_cmp_lt_i64_e32 vcc_lo, v[15:16], v[7:8]
	s_or_b32 s19, s18, s19
	s_mov_b32 s18, 0
	s_and_saveexec_b32 s51, s19
	s_xor_b32 s19, exec_lo, s51
; %bb.45:                               ;   in Loop: Header=BB68_44 Depth=2
	s_and_b32 s18, vcc_lo, exec_lo
; %bb.46:                               ;   in Loop: Header=BB68_44 Depth=2
	s_andn2_saveexec_b32 s19, s19
; %bb.47:                               ;   in Loop: Header=BB68_44 Depth=2
	v_sub_nc_u32_e32 v17, v15, v5
	s_or_b32 s18, s18, exec_lo
	ds_write_b8 v17, v40 offset:8192
; %bb.48:                               ;   in Loop: Header=BB68_44 Depth=2
	s_or_b32 exec_lo, exec_lo, s19
	s_mov_b32 s51, -1
	s_or_b32 s50, s50, exec_lo
	s_and_saveexec_b32 s19, s18
	s_cbranch_execz .LBB68_43
; %bb.49:                               ;   in Loop: Header=BB68_44 Depth=2
	v_add_co_u32 v11, vcc_lo, 0x200, v11
	v_add_co_ci_u32_e64 v12, null, 0, v12, vcc_lo
	v_add_co_u32 v13, s18, 0x1000, v13
	v_add_co_ci_u32_e64 v14, null, 0, v14, s18
	v_cmp_le_i64_e32 vcc_lo, s[20:21], v[11:12]
	s_andn2_b32 s50, s50, exec_lo
	s_orn2_b32 s51, vcc_lo, exec_lo
	s_branch .LBB68_43
.LBB68_50:                              ;   in Loop: Header=BB68_7 Depth=1
	s_or_b32 exec_lo, exec_lo, s48
	s_and_saveexec_b32 s18, s49
	s_xor_b32 s18, exec_lo, s18
; %bb.51:                               ;   in Loop: Header=BB68_7 Depth=1
	v_cmp_lt_i64_e32 vcc_lo, v[15:16], v[9:10]
	v_cndmask_b32_e32 v10, v10, v16, vcc_lo
	v_cndmask_b32_e32 v9, v9, v15, vcc_lo
; %bb.52:                               ;   in Loop: Header=BB68_7 Depth=1
	s_or_b32 exec_lo, exec_lo, s18
.LBB68_53:                              ;   in Loop: Header=BB68_7 Depth=1
	s_or_b32 exec_lo, exec_lo, s47
.LBB68_54:                              ;   in Loop: Header=BB68_7 Depth=1
	ds_bpermute_b32 v7, v32, v9
	ds_bpermute_b32 v8, v32, v10
	s_waitcnt lgkmcnt(0)
	v_cmp_lt_i64_e32 vcc_lo, v[7:8], v[9:10]
	v_cndmask_b32_e32 v8, v10, v8, vcc_lo
	v_cndmask_b32_e32 v7, v9, v7, vcc_lo
	ds_bpermute_b32 v10, v33, v8
	ds_bpermute_b32 v9, v33, v7
	s_waitcnt lgkmcnt(0)
	v_cmp_lt_i64_e32 vcc_lo, v[9:10], v[7:8]
	v_cndmask_b32_e32 v8, v8, v10, vcc_lo
	v_cndmask_b32_e32 v7, v7, v9, vcc_lo
	ds_bpermute_b32 v10, v34, v8
	ds_bpermute_b32 v9, v34, v7
	s_waitcnt lgkmcnt(0)
	v_cmp_lt_i64_e32 vcc_lo, v[9:10], v[7:8]
	v_cndmask_b32_e32 v8, v8, v10, vcc_lo
	v_cndmask_b32_e32 v7, v7, v9, vcc_lo
	ds_bpermute_b32 v11, v35, v8
	ds_bpermute_b32 v9, v35, v7
	s_and_saveexec_b32 s20, s1
	s_cbranch_execz .LBB68_59
; %bb.55:                               ;   in Loop: Header=BB68_7 Depth=1
	s_waitcnt lgkmcnt(1)
	v_mov_b32_e32 v10, v11
	s_mov_b32 s21, exec_lo
	s_mov_b64 s[18:19], -1
	s_waitcnt lgkmcnt(0)
	v_cmp_lt_i64_e32 vcc_lo, v[9:10], v[7:8]
	v_cndmask_b32_e32 v8, v8, v11, vcc_lo
	v_cndmask_b32_e32 v7, v7, v9, vcc_lo
.LBB68_56:                              ;   Parent Loop BB68_7 Depth=1
                                        ; =>  This Inner Loop Header: Depth=2
	s_ff1_i32_b32 s47, s21
	v_readlane_b32 s49, v8, s47
	v_readlane_b32 s48, v7, s47
	v_cmp_lt_u64_e64 s50, s[18:19], s[48:49]
	s_and_b32 s50, s50, exec_lo
	s_cselect_b32 s19, s19, s49
	s_cselect_b32 s18, s18, s48
	s_lshl_b32 s47, 1, s47
	s_andn2_b32 s21, s21, s47
	s_cmp_lg_u32 s21, 0
	s_cbranch_scc1 .LBB68_56
; %bb.57:                               ;   in Loop: Header=BB68_7 Depth=1
	v_mbcnt_lo_u32_b32 v7, exec_lo, 0
	s_mov_b32 s21, exec_lo
	v_cmpx_eq_u32_e32 0, v7
	s_xor_b32 s21, exec_lo, s21
; %bb.58:                               ;   in Loop: Header=BB68_7 Depth=1
	v_mov_b32_e32 v7, s18
	v_mov_b32_e32 v8, s19
	ds_min_u64 v28, v[7:8] offset:10240
.LBB68_59:                              ;   in Loop: Header=BB68_7 Depth=1
	s_or_b32 exec_lo, exec_lo, s20
	v_add_co_u32 v5, vcc_lo, v37, v5
	v_add_co_ci_u32_e64 v6, null, v38, v6, vcc_lo
	s_waitcnt lgkmcnt(0)
	v_mov_b32_e32 v9, v39
	s_mov_b32 s19, 0
	s_waitcnt_vscnt null, 0x0
	s_barrier
	buffer_gl0_inv
	s_branch .LBB68_61
.LBB68_60:                              ;   in Loop: Header=BB68_61 Depth=2
	s_or_b32 exec_lo, exec_lo, s18
	s_waitcnt lgkmcnt(0)
	s_waitcnt_vscnt null, 0x0
	s_barrier
	buffer_gl0_inv
	ds_read_b32 v7, v28 offset:60
	v_add_nc_u32_e32 v9, 0x200, v9
	v_cmp_lt_u32_e32 vcc_lo, 0x5ff, v9
	s_or_b32 s19, vcc_lo, s19
	s_waitcnt lgkmcnt(0)
	v_ashrrev_i32_e32 v8, 31, v7
	v_add_co_u32 v3, s18, v3, v7
	v_add_co_ci_u32_e64 v4, null, v4, v8, s18
	v_add_co_u32 v5, s18, 0x200, v5
	v_add_co_ci_u32_e64 v6, null, 0, v6, s18
	s_andn2_b32 exec_lo, exec_lo, s19
	s_cbranch_execz .LBB68_6
.LBB68_61:                              ;   Parent Loop BB68_7 Depth=1
                                        ; =>  This Inner Loop Header: Depth=2
	ds_read_u8 v7, v9 offset:8704
	s_waitcnt lgkmcnt(0)
	s_barrier
	buffer_gl0_inv
	v_cmp_ne_u16_e32 vcc_lo, 0, v7
	s_bcnt1_i32_b32 s18, vcc_lo
	v_mov_b32_e32 v8, s18
	s_mov_b32 s18, exec_lo
	ds_write_b32 v36, v8
	s_waitcnt lgkmcnt(0)
	s_barrier
	buffer_gl0_inv
	ds_read_b128 v[10:13], v28
	ds_read_b128 v[14:17], v28 offset:16
	v_and_b32_e32 v8, vcc_lo, v31
	ds_read_b128 v[18:21], v28 offset:32
	s_waitcnt lgkmcnt(2)
	v_cndmask_b32_e64 v10, v10, 0, s3
	v_cndmask_b32_e64 v22, v11, 0, s4
	;; [unrolled: 1-line block ×4, first 2 shown]
	s_waitcnt lgkmcnt(1)
	v_cndmask_b32_e64 v14, v14, 0, s7
	v_bcnt_u32_b32 v8, v8, v10
	ds_read_b96 v[10:12], v28 offset:48
	v_cndmask_b32_e64 v15, v15, 0, s8
	v_cndmask_b32_e64 v16, v16, 0, s9
	v_add3_u32 v8, v8, v22, v23
	v_add3_u32 v8, v8, v13, v14
	v_cndmask_b32_e64 v13, v17, 0, s10
	s_waitcnt lgkmcnt(1)
	v_cndmask_b32_e64 v14, v18, 0, s11
	v_add3_u32 v8, v8, v15, v16
	v_cndmask_b32_e64 v15, v19, 0, s12
	v_cndmask_b32_e64 v16, v20, 0, s13
	v_add3_u32 v8, v8, v13, v14
	v_cndmask_b32_e64 v13, v21, 0, s14
	s_waitcnt lgkmcnt(0)
	v_cndmask_b32_e64 v10, v10, 0, s15
	v_cndmask_b32_e64 v11, v11, 0, s16
	;; [unrolled: 1-line block ×3, first 2 shown]
	v_add3_u32 v8, v8, v15, v16
	v_add3_u32 v8, v8, v13, v10
	v_and_b32_e32 v10, 1, v7
	v_add3_u32 v7, v8, v11, v12
	v_cmpx_eq_u32_e32 1, v10
	s_cbranch_execz .LBB68_63
; %bb.62:                               ;   in Loop: Header=BB68_61 Depth=2
	v_ashrrev_i32_e32 v8, 31, v7
	v_lshlrev_b64 v[10:11], 3, v[3:4]
	v_lshlrev_b64 v[12:13], 3, v[7:8]
	v_add_co_u32 v8, vcc_lo, s28, v10
	v_add_co_ci_u32_e64 v11, null, s29, v11, vcc_lo
	v_add_co_u32 v10, vcc_lo, v8, v12
	v_add_co_ci_u32_e64 v11, null, v11, v13, vcc_lo
	global_store_dwordx2 v[10:11], v[5:6], off offset:-8
.LBB68_63:                              ;   in Loop: Header=BB68_61 Depth=2
	s_or_b32 exec_lo, exec_lo, s18
	s_and_saveexec_b32 s18, s2
	s_cbranch_execz .LBB68_60
; %bb.64:                               ;   in Loop: Header=BB68_61 Depth=2
	ds_write_b32 v28, v7 offset:60
	s_branch .LBB68_60
.LBB68_65:
	s_endpgm
	.section	.rodata,"a",@progbits
	.p2align	6, 0x0
	.amdhsa_kernel _ZN9rocsparseL45csrgemm_symbolic_fill_block_per_row_multipassILj512ELj16ELj2048ELj32EllEEvT4_PKS1_S3_PKT3_S3_S6_S3_S6_S3_S6_PS1_PS4_21rocsparse_index_base_S9_S9_S9_bb
		.amdhsa_group_segment_fixed_size 10248
		.amdhsa_private_segment_fixed_size 0
		.amdhsa_kernarg_size 116
		.amdhsa_user_sgpr_count 6
		.amdhsa_user_sgpr_private_segment_buffer 1
		.amdhsa_user_sgpr_dispatch_ptr 0
		.amdhsa_user_sgpr_queue_ptr 0
		.amdhsa_user_sgpr_kernarg_segment_ptr 1
		.amdhsa_user_sgpr_dispatch_id 0
		.amdhsa_user_sgpr_flat_scratch_init 0
		.amdhsa_user_sgpr_private_segment_size 0
		.amdhsa_wavefront_size32 1
		.amdhsa_uses_dynamic_stack 0
		.amdhsa_system_sgpr_private_segment_wavefront_offset 0
		.amdhsa_system_sgpr_workgroup_id_x 1
		.amdhsa_system_sgpr_workgroup_id_y 0
		.amdhsa_system_sgpr_workgroup_id_z 0
		.amdhsa_system_sgpr_workgroup_info 0
		.amdhsa_system_vgpr_workitem_id 0
		.amdhsa_next_free_vgpr 41
		.amdhsa_next_free_sgpr 53
		.amdhsa_reserve_vcc 1
		.amdhsa_reserve_flat_scratch 0
		.amdhsa_float_round_mode_32 0
		.amdhsa_float_round_mode_16_64 0
		.amdhsa_float_denorm_mode_32 3
		.amdhsa_float_denorm_mode_16_64 3
		.amdhsa_dx10_clamp 1
		.amdhsa_ieee_mode 1
		.amdhsa_fp16_overflow 0
		.amdhsa_workgroup_processor_mode 1
		.amdhsa_memory_ordered 1
		.amdhsa_forward_progress 1
		.amdhsa_shared_vgpr_count 0
		.amdhsa_exception_fp_ieee_invalid_op 0
		.amdhsa_exception_fp_denorm_src 0
		.amdhsa_exception_fp_ieee_div_zero 0
		.amdhsa_exception_fp_ieee_overflow 0
		.amdhsa_exception_fp_ieee_underflow 0
		.amdhsa_exception_fp_ieee_inexact 0
		.amdhsa_exception_int_div_zero 0
	.end_amdhsa_kernel
	.section	.text._ZN9rocsparseL45csrgemm_symbolic_fill_block_per_row_multipassILj512ELj16ELj2048ELj32EllEEvT4_PKS1_S3_PKT3_S3_S6_S3_S6_S3_S6_PS1_PS4_21rocsparse_index_base_S9_S9_S9_bb,"axG",@progbits,_ZN9rocsparseL45csrgemm_symbolic_fill_block_per_row_multipassILj512ELj16ELj2048ELj32EllEEvT4_PKS1_S3_PKT3_S3_S6_S3_S6_S3_S6_PS1_PS4_21rocsparse_index_base_S9_S9_S9_bb,comdat
.Lfunc_end68:
	.size	_ZN9rocsparseL45csrgemm_symbolic_fill_block_per_row_multipassILj512ELj16ELj2048ELj32EllEEvT4_PKS1_S3_PKT3_S3_S6_S3_S6_S3_S6_PS1_PS4_21rocsparse_index_base_S9_S9_S9_bb, .Lfunc_end68-_ZN9rocsparseL45csrgemm_symbolic_fill_block_per_row_multipassILj512ELj16ELj2048ELj32EllEEvT4_PKS1_S3_PKT3_S3_S6_S3_S6_S3_S6_PS1_PS4_21rocsparse_index_base_S9_S9_S9_bb
                                        ; -- End function
	.set _ZN9rocsparseL45csrgemm_symbolic_fill_block_per_row_multipassILj512ELj16ELj2048ELj32EllEEvT4_PKS1_S3_PKT3_S3_S6_S3_S6_S3_S6_PS1_PS4_21rocsparse_index_base_S9_S9_S9_bb.num_vgpr, 41
	.set _ZN9rocsparseL45csrgemm_symbolic_fill_block_per_row_multipassILj512ELj16ELj2048ELj32EllEEvT4_PKS1_S3_PKT3_S3_S6_S3_S6_S3_S6_PS1_PS4_21rocsparse_index_base_S9_S9_S9_bb.num_agpr, 0
	.set _ZN9rocsparseL45csrgemm_symbolic_fill_block_per_row_multipassILj512ELj16ELj2048ELj32EllEEvT4_PKS1_S3_PKT3_S3_S6_S3_S6_S3_S6_PS1_PS4_21rocsparse_index_base_S9_S9_S9_bb.numbered_sgpr, 53
	.set _ZN9rocsparseL45csrgemm_symbolic_fill_block_per_row_multipassILj512ELj16ELj2048ELj32EllEEvT4_PKS1_S3_PKT3_S3_S6_S3_S6_S3_S6_PS1_PS4_21rocsparse_index_base_S9_S9_S9_bb.num_named_barrier, 0
	.set _ZN9rocsparseL45csrgemm_symbolic_fill_block_per_row_multipassILj512ELj16ELj2048ELj32EllEEvT4_PKS1_S3_PKT3_S3_S6_S3_S6_S3_S6_PS1_PS4_21rocsparse_index_base_S9_S9_S9_bb.private_seg_size, 0
	.set _ZN9rocsparseL45csrgemm_symbolic_fill_block_per_row_multipassILj512ELj16ELj2048ELj32EllEEvT4_PKS1_S3_PKT3_S3_S6_S3_S6_S3_S6_PS1_PS4_21rocsparse_index_base_S9_S9_S9_bb.uses_vcc, 1
	.set _ZN9rocsparseL45csrgemm_symbolic_fill_block_per_row_multipassILj512ELj16ELj2048ELj32EllEEvT4_PKS1_S3_PKT3_S3_S6_S3_S6_S3_S6_PS1_PS4_21rocsparse_index_base_S9_S9_S9_bb.uses_flat_scratch, 0
	.set _ZN9rocsparseL45csrgemm_symbolic_fill_block_per_row_multipassILj512ELj16ELj2048ELj32EllEEvT4_PKS1_S3_PKT3_S3_S6_S3_S6_S3_S6_PS1_PS4_21rocsparse_index_base_S9_S9_S9_bb.has_dyn_sized_stack, 0
	.set _ZN9rocsparseL45csrgemm_symbolic_fill_block_per_row_multipassILj512ELj16ELj2048ELj32EllEEvT4_PKS1_S3_PKT3_S3_S6_S3_S6_S3_S6_PS1_PS4_21rocsparse_index_base_S9_S9_S9_bb.has_recursion, 0
	.set _ZN9rocsparseL45csrgemm_symbolic_fill_block_per_row_multipassILj512ELj16ELj2048ELj32EllEEvT4_PKS1_S3_PKT3_S3_S6_S3_S6_S3_S6_PS1_PS4_21rocsparse_index_base_S9_S9_S9_bb.has_indirect_call, 0
	.section	.AMDGPU.csdata,"",@progbits
; Kernel info:
; codeLenInByte = 2908
; TotalNumSgprs: 55
; NumVgprs: 41
; ScratchSize: 0
; MemoryBound: 0
; FloatMode: 240
; IeeeMode: 1
; LDSByteSize: 10248 bytes/workgroup (compile time only)
; SGPRBlocks: 0
; VGPRBlocks: 5
; NumSGPRsForWavesPerEU: 55
; NumVGPRsForWavesPerEU: 41
; Occupancy: 16
; WaveLimiterHint : 1
; COMPUTE_PGM_RSRC2:SCRATCH_EN: 0
; COMPUTE_PGM_RSRC2:USER_SGPR: 6
; COMPUTE_PGM_RSRC2:TRAP_HANDLER: 0
; COMPUTE_PGM_RSRC2:TGID_X_EN: 1
; COMPUTE_PGM_RSRC2:TGID_Y_EN: 0
; COMPUTE_PGM_RSRC2:TGID_Z_EN: 0
; COMPUTE_PGM_RSRC2:TIDIG_COMP_CNT: 0
	.section	.text._ZN9rocsparseL45csrgemm_symbolic_fill_block_per_row_multipassILj512ELj16ELj2048ELj64EllEEvT4_PKS1_S3_PKT3_S3_S6_S3_S6_S3_S6_PS1_PS4_21rocsparse_index_base_S9_S9_S9_bb,"axG",@progbits,_ZN9rocsparseL45csrgemm_symbolic_fill_block_per_row_multipassILj512ELj16ELj2048ELj64EllEEvT4_PKS1_S3_PKT3_S3_S6_S3_S6_S3_S6_PS1_PS4_21rocsparse_index_base_S9_S9_S9_bb,comdat
	.globl	_ZN9rocsparseL45csrgemm_symbolic_fill_block_per_row_multipassILj512ELj16ELj2048ELj64EllEEvT4_PKS1_S3_PKT3_S3_S6_S3_S6_S3_S6_PS1_PS4_21rocsparse_index_base_S9_S9_S9_bb ; -- Begin function _ZN9rocsparseL45csrgemm_symbolic_fill_block_per_row_multipassILj512ELj16ELj2048ELj64EllEEvT4_PKS1_S3_PKT3_S3_S6_S3_S6_S3_S6_PS1_PS4_21rocsparse_index_base_S9_S9_S9_bb
	.p2align	8
	.type	_ZN9rocsparseL45csrgemm_symbolic_fill_block_per_row_multipassILj512ELj16ELj2048ELj64EllEEvT4_PKS1_S3_PKT3_S3_S6_S3_S6_S3_S6_PS1_PS4_21rocsparse_index_base_S9_S9_S9_bb,@function
_ZN9rocsparseL45csrgemm_symbolic_fill_block_per_row_multipassILj512ELj16ELj2048ELj64EllEEvT4_PKS1_S3_PKT3_S3_S6_S3_S6_S3_S6_PS1_PS4_21rocsparse_index_base_S9_S9_S9_bb: ; @_ZN9rocsparseL45csrgemm_symbolic_fill_block_per_row_multipassILj512ELj16ELj2048ELj64EllEEvT4_PKS1_S3_PKT3_S3_S6_S3_S6_S3_S6_PS1_PS4_21rocsparse_index_base_S9_S9_S9_bb
; %bb.0:
	s_clause 0x2
	s_load_dwordx4 s[12:15], s[4:5], 0x8
	s_load_dword s8, s[4:5], 0x70
	s_load_dwordx2 s[0:1], s[4:5], 0x18
	s_mov_b32 s7, 0
	s_waitcnt lgkmcnt(0)
	s_load_dwordx2 s[2:3], s[12:13], 0x0
	s_load_dwordx4 s[36:39], s[4:5], 0x60
	s_bitcmp1_b32 s8, 0
	s_cselect_b32 s10, -1, 0
	s_waitcnt lgkmcnt(0)
	s_lshl_b64 s[2:3], s[2:3], 3
	s_add_u32 s9, s14, s2
	s_addc_u32 s11, s15, s3
	s_lshl_b64 s[2:3], s[6:7], 3
	s_mov_b64 s[14:15], 0
	s_add_u32 s2, s9, s2
	s_addc_u32 s3, s11, s3
	s_bitcmp0_b32 s8, 0
	s_load_dwordx2 s[2:3], s[2:3], 0x0
	s_mov_b64 s[6:7], 0
	s_cbranch_scc0 .LBB69_3
; %bb.1:
	s_andn2_b32 vcc_lo, exec_lo, s10
	s_cbranch_vccz .LBB69_4
.LBB69_2:
	s_load_dwordx2 s[34:35], s[4:5], 0x0
	s_waitcnt lgkmcnt(0)
	v_cmp_lt_i64_e64 s0, s[34:35], 1
	s_and_b32 vcc_lo, exec_lo, s0
	s_cbranch_vccz .LBB69_5
	s_branch .LBB69_65
.LBB69_3:
	s_waitcnt lgkmcnt(0)
	s_lshl_b64 s[6:7], s[2:3], 3
	s_add_u32 s6, s0, s6
	s_addc_u32 s7, s1, s7
	s_load_dwordx2 s[6:7], s[6:7], 0x0
	s_waitcnt lgkmcnt(0)
	s_sub_u32 s6, s6, s36
	s_subb_u32 s7, s7, 0
	s_andn2_b32 vcc_lo, exec_lo, s10
	s_cbranch_vccnz .LBB69_2
.LBB69_4:
	s_waitcnt lgkmcnt(0)
	s_lshl_b64 s[12:13], s[2:3], 3
	s_add_u32 s0, s0, s12
	s_addc_u32 s1, s1, s13
	s_load_dwordx2 s[0:1], s[0:1], 0x8
	s_waitcnt lgkmcnt(0)
	s_sub_u32 s14, s0, s36
	s_subb_u32 s15, s1, 0
	s_load_dwordx2 s[34:35], s[4:5], 0x0
	s_waitcnt lgkmcnt(0)
	v_cmp_lt_i64_e64 s0, s[34:35], 1
	s_and_b32 vcc_lo, exec_lo, s0
	s_cbranch_vccnz .LBB69_65
.LBB69_5:
	s_clause 0x1
	s_load_dwordx8 s[16:23], s[4:5], 0x40
	s_load_dwordx8 s[24:31], s[4:5], 0x20
	v_mbcnt_lo_u32_b32 v4, -1, 0
	s_bitcmp1_b32 s8, 8
	v_lshrrev_b32_e32 v3, 4, v0
	s_mov_b32 s33, s37
	s_cselect_b32 s37, -1, 0
	s_lshl_b64 s[4:5], s[2:3], 3
	v_xor_b32_e32 v5, 8, v4
	v_sub_co_u32 v29, s1, v0, s39
	v_sub_co_ci_u32_e64 v30, null, 0, 0, s1
	v_add_co_u32 v1, s1, s6, v3
	v_add_co_ci_u32_e64 v2, null, s7, 0, s1
	v_xor_b32_e32 v6, 4, v4
	v_xor_b32_e32 v7, 2, v4
	v_and_b32_e32 v31, 28, v3
	s_waitcnt lgkmcnt(0)
	s_add_u32 s2, s18, s4
	s_addc_u32 s3, s19, s5
	v_xor_b32_e32 v8, 1, v4
	s_load_dwordx2 s[6:7], s[2:3], 0x0
	v_cmp_gt_i32_e64 s2, 32, v5
	v_xor_b32_e32 v9, 31, v4
	v_and_b32_e32 v27, 15, v0
	v_cmp_gt_i64_e32 vcc_lo, s[14:15], v[1:2]
	v_add_co_u32 v37, s11, v0, s38
	v_cndmask_b32_e64 v3, v4, v5, s2
	v_cmp_gt_i32_e64 s2, 32, v6
	v_cmp_eq_u32_e64 s0, 0, v0
	v_mov_b32_e32 v28, 0
	v_cmp_eq_u32_e64 s1, 15, v27
	v_lshlrev_b32_e32 v33, 2, v3
	v_cndmask_b32_e64 v5, v4, v6, s2
	v_cmp_gt_i32_e64 s2, 32, v7
	v_lshrrev_b32_e64 v32, v9, -1
	v_cmp_gt_u32_e64 s3, 64, v0
	v_cmp_gt_u32_e64 s8, 0x180, v0
	v_lshlrev_b32_e32 v34, 2, v5
	v_cndmask_b32_e64 v6, v4, v7, s2
	v_cmp_gt_i32_e64 s2, 32, v8
	s_waitcnt lgkmcnt(0)
	s_sub_u32 s12, s6, s38
	s_subb_u32 s13, s7, 0
	s_add_u32 s18, s30, s4
	v_lshlrev_b32_e32 v35, 2, v6
	v_cndmask_b32_e64 v4, v4, v8, s2
	v_mov_b32_e32 v5, 0
	v_mov_b32_e32 v7, 0x800
	s_addc_u32 s19, s31, s5
	v_cmp_eq_u32_e64 s2, 0x1ff, v0
	v_lshlrev_b32_e32 v36, 2, v4
	v_mov_b32_e32 v3, s12
	v_cmp_gt_u32_e64 s4, 0x80, v0
	v_cmp_gt_u32_e64 s5, 0xc0, v0
	;; [unrolled: 1-line block ×5, first 2 shown]
	v_add_co_ci_u32_e64 v38, null, 0, 0, s11
	v_or_b32_e32 v39, 0xfffffe00, v0
	v_mov_b32_e32 v6, 0
	v_mov_b32_e32 v8, 0
	;; [unrolled: 1-line block ×4, first 2 shown]
	s_mov_b32 s30, s39
	s_and_b32 s31, s10, vcc_lo
	s_mov_b32 s38, -1
	s_branch .LBB69_7
.LBB69_6:                               ;   in Loop: Header=BB69_7 Depth=1
	s_or_b32 exec_lo, exec_lo, s11
	ds_read_b64 v[5:6], v28 offset:10240
	s_waitcnt lgkmcnt(0)
	s_barrier
	buffer_gl0_inv
	v_cmp_le_i64_e32 vcc_lo, s[34:35], v[5:6]
	v_add_co_u32 v7, s10, 0x800, v5
	v_add_co_ci_u32_e64 v8, null, 0, v6, s10
	s_cbranch_vccnz .LBB69_65
.LBB69_7:                               ; =>This Loop Header: Depth=1
                                        ;     Child Loop BB69_16 Depth 2
                                        ;       Child Loop BB69_24 Depth 3
                                        ;     Child Loop BB69_44 Depth 2
                                        ;     Child Loop BB69_56 Depth 2
	;; [unrolled: 1-line block ×3, first 2 shown]
	s_and_saveexec_b32 s10, s38
	s_cbranch_execnz .LBB69_35
; %bb.8:                                ;   in Loop: Header=BB69_7 Depth=1
	s_or_b32 exec_lo, exec_lo, s10
	s_and_saveexec_b32 s10, s38
	s_cbranch_execnz .LBB69_36
.LBB69_9:                               ;   in Loop: Header=BB69_7 Depth=1
	s_or_b32 exec_lo, exec_lo, s10
	s_and_saveexec_b32 s10, s38
	s_cbranch_execnz .LBB69_37
.LBB69_10:                              ;   in Loop: Header=BB69_7 Depth=1
	s_or_b32 exec_lo, exec_lo, s10
	s_and_saveexec_b32 s10, s38
	s_cbranch_execnz .LBB69_38
.LBB69_11:                              ;   in Loop: Header=BB69_7 Depth=1
	s_or_b32 exec_lo, exec_lo, s10
	s_and_saveexec_b32 s10, s0
.LBB69_12:                              ;   in Loop: Header=BB69_7 Depth=1
	v_mov_b32_e32 v9, s34
	v_mov_b32_e32 v10, s35
	ds_write_b64 v28, v[9:10] offset:10240
.LBB69_13:                              ;   in Loop: Header=BB69_7 Depth=1
	s_or_b32 exec_lo, exec_lo, s10
	v_mov_b32_e32 v9, s34
	v_mov_b32_e32 v10, s35
	s_waitcnt lgkmcnt(0)
	s_barrier
	buffer_gl0_inv
	s_and_saveexec_b32 s13, s31
	s_cbranch_execz .LBB69_40
; %bb.14:                               ;   in Loop: Header=BB69_7 Depth=1
	v_cmp_ne_u64_e64 s10, 0, v[5:6]
	v_mov_b32_e32 v9, s34
	v_mov_b32_e32 v12, v2
	;; [unrolled: 1-line block ×4, first 2 shown]
	s_mov_b32 s39, 0
	s_branch .LBB69_16
.LBB69_15:                              ;   in Loop: Header=BB69_16 Depth=2
	s_or_b32 exec_lo, exec_lo, s12
	v_add_co_u32 v11, vcc_lo, v11, 32
	v_add_co_ci_u32_e64 v12, null, 0, v12, vcc_lo
	v_cmp_le_i64_e32 vcc_lo, s[14:15], v[11:12]
	s_or_b32 s39, vcc_lo, s39
	s_andn2_b32 exec_lo, exec_lo, s39
	s_cbranch_execz .LBB69_39
.LBB69_16:                              ;   Parent Loop BB69_7 Depth=1
                                        ; =>  This Loop Header: Depth=2
                                        ;       Child Loop BB69_24 Depth 3
	v_lshlrev_b64 v[13:14], 3, v[11:12]
	v_add_co_u32 v15, vcc_lo, s24, v13
	v_add_co_ci_u32_e64 v16, null, s25, v14, vcc_lo
	s_and_b32 vcc_lo, exec_lo, s10
	s_waitcnt lgkmcnt(0)
	global_load_dwordx2 v[17:18], v[15:16], off
	s_cbranch_vccz .LBB69_18
; %bb.17:                               ;   in Loop: Header=BB69_16 Depth=2
	v_add_co_u32 v15, vcc_lo, s22, v13
	v_add_co_ci_u32_e64 v16, null, s23, v14, vcc_lo
	s_mov_b32 s11, 0
	global_load_dwordx2 v[15:16], v[15:16], off
	s_branch .LBB69_19
.LBB69_18:                              ;   in Loop: Header=BB69_16 Depth=2
	s_mov_b32 s11, -1
                                        ; implicit-def: $vgpr15_vgpr16
.LBB69_19:                              ;   in Loop: Header=BB69_16 Depth=2
	s_waitcnt vmcnt(0)
	v_sub_co_u32 v17, vcc_lo, v17, s36
	v_subrev_co_ci_u32_e64 v18, null, 0, v18, vcc_lo
	s_andn2_b32 vcc_lo, exec_lo, s11
	v_lshlrev_b64 v[17:18], 3, v[17:18]
	s_cbranch_vccnz .LBB69_21
; %bb.20:                               ;   in Loop: Header=BB69_16 Depth=2
	v_add_co_u32 v15, vcc_lo, s26, v17
	v_add_co_ci_u32_e64 v16, null, s27, v18, vcc_lo
	global_load_dwordx2 v[15:16], v[15:16], off
	s_waitcnt vmcnt(0)
	v_sub_co_u32 v15, vcc_lo, v15, s33
	v_subrev_co_ci_u32_e64 v16, null, 0, v16, vcc_lo
.LBB69_21:                              ;   in Loop: Header=BB69_16 Depth=2
	v_add_co_u32 v17, vcc_lo, s26, v17
	v_add_co_ci_u32_e64 v18, null, s27, v18, vcc_lo
	s_mov_b32 s40, exec_lo
	global_load_dwordx2 v[17:18], v[17:18], off offset:8
	s_waitcnt vmcnt(0)
	v_sub_co_u32 v17, vcc_lo, v17, s33
	v_subrev_co_ci_u32_e64 v18, null, 0, v18, vcc_lo
	v_add_co_u32 v15, vcc_lo, v15, v27
	v_add_co_ci_u32_e64 v16, null, 0, v16, vcc_lo
	v_cmpx_lt_i64_e64 v[15:16], v[17:18]
	s_cbranch_execz .LBB69_33
; %bb.22:                               ;   in Loop: Header=BB69_16 Depth=2
	v_lshlrev_b64 v[19:20], 3, v[15:16]
	v_mov_b32_e32 v26, v16
	v_mov_b32_e32 v25, v15
	s_mov_b32 s42, 0
                                        ; implicit-def: $sgpr41
                                        ; implicit-def: $sgpr43
	v_add_co_u32 v19, vcc_lo, s28, v19
	v_add_co_ci_u32_e64 v20, null, s29, v20, vcc_lo
	s_branch .LBB69_24
.LBB69_23:                              ;   in Loop: Header=BB69_24 Depth=3
	s_or_b32 exec_lo, exec_lo, s12
	s_and_b32 s11, exec_lo, s44
	s_or_b32 s42, s11, s42
	s_andn2_b32 s11, s41, exec_lo
	s_and_b32 s12, s43, exec_lo
	s_or_b32 s41, s11, s12
	s_andn2_b32 exec_lo, exec_lo, s42
	s_cbranch_execz .LBB69_30
.LBB69_24:                              ;   Parent Loop BB69_7 Depth=1
                                        ;     Parent Loop BB69_16 Depth=2
                                        ; =>    This Inner Loop Header: Depth=3
	global_load_dwordx2 v[21:22], v[19:20], off
	v_mov_b32_e32 v23, v25
	v_mov_b32_e32 v24, v26
	s_waitcnt vmcnt(0)
	v_sub_co_u32 v21, vcc_lo, v21, s33
	v_subrev_co_ci_u32_e64 v22, null, 0, v22, vcc_lo
	v_cmp_lt_i64_e64 s11, v[21:22], v[5:6]
	v_cmp_ge_i64_e64 s12, v[21:22], v[7:8]
	v_cmp_lt_i64_e32 vcc_lo, v[21:22], v[7:8]
	s_or_b32 s12, s11, s12
	s_mov_b32 s11, 0
	s_and_saveexec_b32 s44, s12
	s_xor_b32 s12, exec_lo, s44
; %bb.25:                               ;   in Loop: Header=BB69_24 Depth=3
	s_and_b32 s11, vcc_lo, exec_lo
; %bb.26:                               ;   in Loop: Header=BB69_24 Depth=3
	s_andn2_saveexec_b32 s12, s12
; %bb.27:                               ;   in Loop: Header=BB69_24 Depth=3
	v_sub_nc_u32_e32 v25, v21, v5
	s_or_b32 s11, s11, exec_lo
	ds_write_b8 v25, v40 offset:8192
; %bb.28:                               ;   in Loop: Header=BB69_24 Depth=3
	s_or_b32 exec_lo, exec_lo, s12
	s_mov_b32 s44, -1
	s_or_b32 s43, s43, exec_lo
                                        ; implicit-def: $vgpr25_vgpr26
	s_and_saveexec_b32 s12, s11
	s_cbranch_execz .LBB69_23
; %bb.29:                               ;   in Loop: Header=BB69_24 Depth=3
	v_add_co_u32 v25, vcc_lo, v23, 16
	v_add_co_ci_u32_e64 v26, null, 0, v24, vcc_lo
	v_add_co_u32 v19, s11, 0x80, v19
	v_add_co_ci_u32_e64 v20, null, 0, v20, s11
	v_cmp_ge_i64_e32 vcc_lo, v[25:26], v[17:18]
	s_andn2_b32 s43, s43, exec_lo
	s_orn2_b32 s44, vcc_lo, exec_lo
	s_branch .LBB69_23
.LBB69_30:                              ;   in Loop: Header=BB69_16 Depth=2
	s_or_b32 exec_lo, exec_lo, s42
	s_and_saveexec_b32 s11, s41
	s_xor_b32 s11, exec_lo, s11
; %bb.31:                               ;   in Loop: Header=BB69_16 Depth=2
	v_cmp_lt_i64_e32 vcc_lo, v[21:22], v[9:10]
	v_mov_b32_e32 v15, v23
	v_mov_b32_e32 v16, v24
	v_cndmask_b32_e32 v10, v10, v22, vcc_lo
	v_cndmask_b32_e32 v9, v9, v21, vcc_lo
; %bb.32:                               ;   in Loop: Header=BB69_16 Depth=2
	s_or_b32 exec_lo, exec_lo, s11
.LBB69_33:                              ;   in Loop: Header=BB69_16 Depth=2
	s_or_b32 exec_lo, exec_lo, s40
	ds_bpermute_b32 v17, v33, v15
	ds_bpermute_b32 v18, v33, v16
	s_waitcnt lgkmcnt(0)
	v_cmp_lt_i64_e32 vcc_lo, v[17:18], v[15:16]
	v_cndmask_b32_e32 v16, v16, v18, vcc_lo
	v_cndmask_b32_e32 v15, v15, v17, vcc_lo
	ds_bpermute_b32 v18, v34, v16
	ds_bpermute_b32 v17, v34, v15
	s_waitcnt lgkmcnt(0)
	v_cmp_lt_i64_e32 vcc_lo, v[17:18], v[15:16]
	v_cndmask_b32_e32 v16, v16, v18, vcc_lo
	v_cndmask_b32_e32 v15, v15, v17, vcc_lo
	;; [unrolled: 6-line block ×3, first 2 shown]
	ds_bpermute_b32 v19, v36, v16
	ds_bpermute_b32 v17, v36, v15
	s_and_saveexec_b32 s12, s1
	s_cbranch_execz .LBB69_15
; %bb.34:                               ;   in Loop: Header=BB69_16 Depth=2
	s_waitcnt lgkmcnt(1)
	v_mov_b32_e32 v18, v19
	v_add_co_u32 v13, s11, s22, v13
	v_add_co_ci_u32_e64 v14, null, s23, v14, s11
	s_waitcnt lgkmcnt(0)
	v_cmp_lt_i64_e32 vcc_lo, v[17:18], v[15:16]
	v_cndmask_b32_e32 v16, v16, v19, vcc_lo
	v_cndmask_b32_e32 v15, v15, v17, vcc_lo
	global_store_dwordx2 v[13:14], v[15:16], off
	s_branch .LBB69_15
.LBB69_35:                              ;   in Loop: Header=BB69_7 Depth=1
	ds_write_b8 v0, v28 offset:8192
	s_or_b32 exec_lo, exec_lo, s10
	s_and_saveexec_b32 s10, s38
	s_cbranch_execz .LBB69_9
.LBB69_36:                              ;   in Loop: Header=BB69_7 Depth=1
	ds_write_b8 v0, v28 offset:8704
	s_or_b32 exec_lo, exec_lo, s10
	s_and_saveexec_b32 s10, s38
	s_cbranch_execz .LBB69_10
.LBB69_37:                              ;   in Loop: Header=BB69_7 Depth=1
	ds_write_b8 v0, v28 offset:9216
	s_or_b32 exec_lo, exec_lo, s10
	s_and_saveexec_b32 s10, s38
	s_cbranch_execz .LBB69_11
.LBB69_38:                              ;   in Loop: Header=BB69_7 Depth=1
	ds_write_b8 v0, v28 offset:9728
	s_or_b32 exec_lo, exec_lo, s10
	s_and_saveexec_b32 s10, s0
	s_cbranch_execnz .LBB69_12
	s_branch .LBB69_13
.LBB69_39:                              ;   in Loop: Header=BB69_7 Depth=1
	s_or_b32 exec_lo, exec_lo, s39
.LBB69_40:                              ;   in Loop: Header=BB69_7 Depth=1
	s_or_b32 exec_lo, exec_lo, s13
	s_andn2_b32 vcc_lo, exec_lo, s37
	s_cbranch_vccnz .LBB69_54
; %bb.41:                               ;   in Loop: Header=BB69_7 Depth=1
	s_load_dwordx4 s[40:43], s[18:19], 0x0
	s_mov_b32 s39, exec_lo
	s_waitcnt lgkmcnt(0)
	v_add_co_u32 v11, vcc_lo, s40, v29
	v_add_co_ci_u32_e64 v12, null, s41, v30, vcc_lo
	s_sub_u32 s12, s42, s30
	s_subb_u32 s13, s43, 0
	v_cmpx_gt_i64_e64 s[12:13], v[11:12]
	s_cbranch_execz .LBB69_53
; %bb.42:                               ;   in Loop: Header=BB69_7 Depth=1
	v_lshlrev_b64 v[13:14], 3, v[11:12]
	s_mov_b32 s40, 0
                                        ; implicit-def: $sgpr41
                                        ; implicit-def: $sgpr42
	v_add_co_u32 v13, vcc_lo, s16, v13
	v_add_co_ci_u32_e64 v14, null, s17, v14, vcc_lo
	s_branch .LBB69_44
.LBB69_43:                              ;   in Loop: Header=BB69_44 Depth=2
	s_or_b32 exec_lo, exec_lo, s11
	s_and_b32 s10, exec_lo, s43
	s_or_b32 s40, s10, s40
	s_andn2_b32 s10, s41, exec_lo
	s_and_b32 s11, s42, exec_lo
	s_or_b32 s41, s10, s11
	s_andn2_b32 exec_lo, exec_lo, s40
	s_cbranch_execz .LBB69_50
.LBB69_44:                              ;   Parent Loop BB69_7 Depth=1
                                        ; =>  This Inner Loop Header: Depth=2
	global_load_dwordx2 v[15:16], v[13:14], off
	s_waitcnt vmcnt(0)
	v_sub_co_u32 v15, vcc_lo, v15, s30
	v_subrev_co_ci_u32_e64 v16, null, 0, v16, vcc_lo
	v_cmp_lt_i64_e64 s10, v[15:16], v[5:6]
	v_cmp_ge_i64_e64 s11, v[15:16], v[7:8]
	v_cmp_lt_i64_e32 vcc_lo, v[15:16], v[7:8]
	s_or_b32 s11, s10, s11
	s_mov_b32 s10, 0
	s_and_saveexec_b32 s43, s11
	s_xor_b32 s11, exec_lo, s43
; %bb.45:                               ;   in Loop: Header=BB69_44 Depth=2
	s_and_b32 s10, vcc_lo, exec_lo
; %bb.46:                               ;   in Loop: Header=BB69_44 Depth=2
	s_andn2_saveexec_b32 s11, s11
; %bb.47:                               ;   in Loop: Header=BB69_44 Depth=2
	v_sub_nc_u32_e32 v17, v15, v5
	s_or_b32 s10, s10, exec_lo
	ds_write_b8 v17, v40 offset:8192
; %bb.48:                               ;   in Loop: Header=BB69_44 Depth=2
	s_or_b32 exec_lo, exec_lo, s11
	s_mov_b32 s43, -1
	s_or_b32 s42, s42, exec_lo
	s_and_saveexec_b32 s11, s10
	s_cbranch_execz .LBB69_43
; %bb.49:                               ;   in Loop: Header=BB69_44 Depth=2
	v_add_co_u32 v11, vcc_lo, 0x200, v11
	v_add_co_ci_u32_e64 v12, null, 0, v12, vcc_lo
	v_add_co_u32 v13, s10, 0x1000, v13
	v_add_co_ci_u32_e64 v14, null, 0, v14, s10
	v_cmp_le_i64_e32 vcc_lo, s[12:13], v[11:12]
	s_andn2_b32 s42, s42, exec_lo
	s_orn2_b32 s43, vcc_lo, exec_lo
	s_branch .LBB69_43
.LBB69_50:                              ;   in Loop: Header=BB69_7 Depth=1
	s_or_b32 exec_lo, exec_lo, s40
	s_and_saveexec_b32 s10, s41
	s_xor_b32 s10, exec_lo, s10
; %bb.51:                               ;   in Loop: Header=BB69_7 Depth=1
	v_cmp_lt_i64_e32 vcc_lo, v[15:16], v[9:10]
	v_cndmask_b32_e32 v10, v10, v16, vcc_lo
	v_cndmask_b32_e32 v9, v9, v15, vcc_lo
; %bb.52:                               ;   in Loop: Header=BB69_7 Depth=1
	s_or_b32 exec_lo, exec_lo, s10
.LBB69_53:                              ;   in Loop: Header=BB69_7 Depth=1
	s_or_b32 exec_lo, exec_lo, s39
.LBB69_54:                              ;   in Loop: Header=BB69_7 Depth=1
	ds_bpermute_b32 v7, v33, v9
	ds_bpermute_b32 v8, v33, v10
	s_waitcnt lgkmcnt(0)
	v_cmp_lt_i64_e32 vcc_lo, v[7:8], v[9:10]
	v_cndmask_b32_e32 v8, v10, v8, vcc_lo
	v_cndmask_b32_e32 v7, v9, v7, vcc_lo
	ds_bpermute_b32 v10, v34, v8
	ds_bpermute_b32 v9, v34, v7
	s_waitcnt lgkmcnt(0)
	v_cmp_lt_i64_e32 vcc_lo, v[9:10], v[7:8]
	v_cndmask_b32_e32 v8, v8, v10, vcc_lo
	v_cndmask_b32_e32 v7, v7, v9, vcc_lo
	;; [unrolled: 6-line block ×3, first 2 shown]
	ds_bpermute_b32 v11, v36, v8
	ds_bpermute_b32 v9, v36, v7
	s_and_saveexec_b32 s12, s1
	s_cbranch_execz .LBB69_59
; %bb.55:                               ;   in Loop: Header=BB69_7 Depth=1
	s_waitcnt lgkmcnt(1)
	v_mov_b32_e32 v10, v11
	s_mov_b32 s13, exec_lo
	s_mov_b64 s[10:11], -1
	s_waitcnt lgkmcnt(0)
	v_cmp_lt_i64_e32 vcc_lo, v[9:10], v[7:8]
	v_cndmask_b32_e32 v8, v8, v11, vcc_lo
	v_cndmask_b32_e32 v7, v7, v9, vcc_lo
.LBB69_56:                              ;   Parent Loop BB69_7 Depth=1
                                        ; =>  This Inner Loop Header: Depth=2
	s_ff1_i32_b32 s39, s13
	v_readlane_b32 s41, v8, s39
	v_readlane_b32 s40, v7, s39
	v_cmp_lt_u64_e64 s42, s[10:11], s[40:41]
	s_and_b32 s42, s42, exec_lo
	s_cselect_b32 s11, s11, s41
	s_cselect_b32 s10, s10, s40
	s_lshl_b32 s39, 1, s39
	s_andn2_b32 s13, s13, s39
	s_cmp_lg_u32 s13, 0
	s_cbranch_scc1 .LBB69_56
; %bb.57:                               ;   in Loop: Header=BB69_7 Depth=1
	v_mbcnt_lo_u32_b32 v7, exec_lo, 0
	s_mov_b32 s13, exec_lo
	v_cmpx_eq_u32_e32 0, v7
	s_xor_b32 s13, exec_lo, s13
; %bb.58:                               ;   in Loop: Header=BB69_7 Depth=1
	v_mov_b32_e32 v7, s10
	v_mov_b32_e32 v8, s11
	ds_min_u64 v28, v[7:8] offset:10240
.LBB69_59:                              ;   in Loop: Header=BB69_7 Depth=1
	s_or_b32 exec_lo, exec_lo, s12
	v_add_co_u32 v5, vcc_lo, v37, v5
	v_add_co_ci_u32_e64 v6, null, v38, v6, vcc_lo
	s_waitcnt lgkmcnt(0)
	v_mov_b32_e32 v9, v39
	s_mov_b32 s11, 0
	s_waitcnt_vscnt null, 0x0
	s_barrier
	buffer_gl0_inv
	s_branch .LBB69_61
.LBB69_60:                              ;   in Loop: Header=BB69_61 Depth=2
	s_or_b32 exec_lo, exec_lo, s10
	s_waitcnt lgkmcnt(0)
	s_waitcnt_vscnt null, 0x0
	s_barrier
	buffer_gl0_inv
	ds_read_b32 v7, v28 offset:28
	v_add_nc_u32_e32 v9, 0x200, v9
	v_cmp_lt_u32_e32 vcc_lo, 0x5ff, v9
	s_or_b32 s11, vcc_lo, s11
	s_waitcnt lgkmcnt(0)
	v_ashrrev_i32_e32 v8, 31, v7
	v_add_co_u32 v3, s10, v3, v7
	v_add_co_ci_u32_e64 v4, null, v4, v8, s10
	v_add_co_u32 v5, s10, 0x200, v5
	v_add_co_ci_u32_e64 v6, null, 0, v6, s10
	s_andn2_b32 exec_lo, exec_lo, s11
	s_cbranch_execz .LBB69_6
.LBB69_61:                              ;   Parent Loop BB69_7 Depth=1
                                        ; =>  This Inner Loop Header: Depth=2
	ds_read_u8 v7, v9 offset:8704
	s_waitcnt lgkmcnt(0)
	s_barrier
	buffer_gl0_inv
	v_cmp_ne_u16_e32 vcc_lo, 0, v7
	s_bcnt1_i32_b32 s10, vcc_lo
	v_mov_b32_e32 v8, s10
	s_mov_b32 s10, exec_lo
	ds_write_b32 v31, v8
	s_waitcnt lgkmcnt(0)
	s_barrier
	buffer_gl0_inv
	ds_read_b128 v[10:13], v28
	ds_read_b96 v[14:16], v28 offset:16
	v_and_b32_e32 v8, vcc_lo, v32
	s_waitcnt lgkmcnt(1)
	v_cndmask_b32_e64 v10, v10, 0, s3
	v_cndmask_b32_e64 v11, v11, 0, s4
	;; [unrolled: 1-line block ×3, first 2 shown]
	v_bcnt_u32_b32 v8, v8, v10
	v_cndmask_b32_e64 v10, v13, 0, s6
	s_waitcnt lgkmcnt(0)
	v_cndmask_b32_e64 v13, v14, 0, s7
	v_add3_u32 v8, v8, v11, v12
	v_cndmask_b32_e64 v11, v15, 0, s8
	v_cndmask_b32_e64 v12, v16, 0, s9
	v_add3_u32 v8, v8, v10, v13
	v_and_b32_e32 v10, 1, v7
	v_add3_u32 v7, v8, v11, v12
	v_cmpx_eq_u32_e32 1, v10
	s_cbranch_execz .LBB69_63
; %bb.62:                               ;   in Loop: Header=BB69_61 Depth=2
	v_ashrrev_i32_e32 v8, 31, v7
	v_lshlrev_b64 v[10:11], 3, v[3:4]
	v_lshlrev_b64 v[12:13], 3, v[7:8]
	v_add_co_u32 v8, vcc_lo, s20, v10
	v_add_co_ci_u32_e64 v11, null, s21, v11, vcc_lo
	v_add_co_u32 v10, vcc_lo, v8, v12
	v_add_co_ci_u32_e64 v11, null, v11, v13, vcc_lo
	global_store_dwordx2 v[10:11], v[5:6], off offset:-8
.LBB69_63:                              ;   in Loop: Header=BB69_61 Depth=2
	s_or_b32 exec_lo, exec_lo, s10
	s_and_saveexec_b32 s10, s2
	s_cbranch_execz .LBB69_60
; %bb.64:                               ;   in Loop: Header=BB69_61 Depth=2
	ds_write_b32 v28, v7 offset:28
	s_branch .LBB69_60
.LBB69_65:
	s_endpgm
	.section	.rodata,"a",@progbits
	.p2align	6, 0x0
	.amdhsa_kernel _ZN9rocsparseL45csrgemm_symbolic_fill_block_per_row_multipassILj512ELj16ELj2048ELj64EllEEvT4_PKS1_S3_PKT3_S3_S6_S3_S6_S3_S6_PS1_PS4_21rocsparse_index_base_S9_S9_S9_bb
		.amdhsa_group_segment_fixed_size 10248
		.amdhsa_private_segment_fixed_size 0
		.amdhsa_kernarg_size 116
		.amdhsa_user_sgpr_count 6
		.amdhsa_user_sgpr_private_segment_buffer 1
		.amdhsa_user_sgpr_dispatch_ptr 0
		.amdhsa_user_sgpr_queue_ptr 0
		.amdhsa_user_sgpr_kernarg_segment_ptr 1
		.amdhsa_user_sgpr_dispatch_id 0
		.amdhsa_user_sgpr_flat_scratch_init 0
		.amdhsa_user_sgpr_private_segment_size 0
		.amdhsa_wavefront_size32 1
		.amdhsa_uses_dynamic_stack 0
		.amdhsa_system_sgpr_private_segment_wavefront_offset 0
		.amdhsa_system_sgpr_workgroup_id_x 1
		.amdhsa_system_sgpr_workgroup_id_y 0
		.amdhsa_system_sgpr_workgroup_id_z 0
		.amdhsa_system_sgpr_workgroup_info 0
		.amdhsa_system_vgpr_workitem_id 0
		.amdhsa_next_free_vgpr 41
		.amdhsa_next_free_sgpr 45
		.amdhsa_reserve_vcc 1
		.amdhsa_reserve_flat_scratch 0
		.amdhsa_float_round_mode_32 0
		.amdhsa_float_round_mode_16_64 0
		.amdhsa_float_denorm_mode_32 3
		.amdhsa_float_denorm_mode_16_64 3
		.amdhsa_dx10_clamp 1
		.amdhsa_ieee_mode 1
		.amdhsa_fp16_overflow 0
		.amdhsa_workgroup_processor_mode 1
		.amdhsa_memory_ordered 1
		.amdhsa_forward_progress 1
		.amdhsa_shared_vgpr_count 0
		.amdhsa_exception_fp_ieee_invalid_op 0
		.amdhsa_exception_fp_denorm_src 0
		.amdhsa_exception_fp_ieee_div_zero 0
		.amdhsa_exception_fp_ieee_overflow 0
		.amdhsa_exception_fp_ieee_underflow 0
		.amdhsa_exception_fp_ieee_inexact 0
		.amdhsa_exception_int_div_zero 0
	.end_amdhsa_kernel
	.section	.text._ZN9rocsparseL45csrgemm_symbolic_fill_block_per_row_multipassILj512ELj16ELj2048ELj64EllEEvT4_PKS1_S3_PKT3_S3_S6_S3_S6_S3_S6_PS1_PS4_21rocsparse_index_base_S9_S9_S9_bb,"axG",@progbits,_ZN9rocsparseL45csrgemm_symbolic_fill_block_per_row_multipassILj512ELj16ELj2048ELj64EllEEvT4_PKS1_S3_PKT3_S3_S6_S3_S6_S3_S6_PS1_PS4_21rocsparse_index_base_S9_S9_S9_bb,comdat
.Lfunc_end69:
	.size	_ZN9rocsparseL45csrgemm_symbolic_fill_block_per_row_multipassILj512ELj16ELj2048ELj64EllEEvT4_PKS1_S3_PKT3_S3_S6_S3_S6_S3_S6_PS1_PS4_21rocsparse_index_base_S9_S9_S9_bb, .Lfunc_end69-_ZN9rocsparseL45csrgemm_symbolic_fill_block_per_row_multipassILj512ELj16ELj2048ELj64EllEEvT4_PKS1_S3_PKT3_S3_S6_S3_S6_S3_S6_PS1_PS4_21rocsparse_index_base_S9_S9_S9_bb
                                        ; -- End function
	.set _ZN9rocsparseL45csrgemm_symbolic_fill_block_per_row_multipassILj512ELj16ELj2048ELj64EllEEvT4_PKS1_S3_PKT3_S3_S6_S3_S6_S3_S6_PS1_PS4_21rocsparse_index_base_S9_S9_S9_bb.num_vgpr, 41
	.set _ZN9rocsparseL45csrgemm_symbolic_fill_block_per_row_multipassILj512ELj16ELj2048ELj64EllEEvT4_PKS1_S3_PKT3_S3_S6_S3_S6_S3_S6_PS1_PS4_21rocsparse_index_base_S9_S9_S9_bb.num_agpr, 0
	.set _ZN9rocsparseL45csrgemm_symbolic_fill_block_per_row_multipassILj512ELj16ELj2048ELj64EllEEvT4_PKS1_S3_PKT3_S3_S6_S3_S6_S3_S6_PS1_PS4_21rocsparse_index_base_S9_S9_S9_bb.numbered_sgpr, 45
	.set _ZN9rocsparseL45csrgemm_symbolic_fill_block_per_row_multipassILj512ELj16ELj2048ELj64EllEEvT4_PKS1_S3_PKT3_S3_S6_S3_S6_S3_S6_PS1_PS4_21rocsparse_index_base_S9_S9_S9_bb.num_named_barrier, 0
	.set _ZN9rocsparseL45csrgemm_symbolic_fill_block_per_row_multipassILj512ELj16ELj2048ELj64EllEEvT4_PKS1_S3_PKT3_S3_S6_S3_S6_S3_S6_PS1_PS4_21rocsparse_index_base_S9_S9_S9_bb.private_seg_size, 0
	.set _ZN9rocsparseL45csrgemm_symbolic_fill_block_per_row_multipassILj512ELj16ELj2048ELj64EllEEvT4_PKS1_S3_PKT3_S3_S6_S3_S6_S3_S6_PS1_PS4_21rocsparse_index_base_S9_S9_S9_bb.uses_vcc, 1
	.set _ZN9rocsparseL45csrgemm_symbolic_fill_block_per_row_multipassILj512ELj16ELj2048ELj64EllEEvT4_PKS1_S3_PKT3_S3_S6_S3_S6_S3_S6_PS1_PS4_21rocsparse_index_base_S9_S9_S9_bb.uses_flat_scratch, 0
	.set _ZN9rocsparseL45csrgemm_symbolic_fill_block_per_row_multipassILj512ELj16ELj2048ELj64EllEEvT4_PKS1_S3_PKT3_S3_S6_S3_S6_S3_S6_PS1_PS4_21rocsparse_index_base_S9_S9_S9_bb.has_dyn_sized_stack, 0
	.set _ZN9rocsparseL45csrgemm_symbolic_fill_block_per_row_multipassILj512ELj16ELj2048ELj64EllEEvT4_PKS1_S3_PKT3_S3_S6_S3_S6_S3_S6_PS1_PS4_21rocsparse_index_base_S9_S9_S9_bb.has_recursion, 0
	.set _ZN9rocsparseL45csrgemm_symbolic_fill_block_per_row_multipassILj512ELj16ELj2048ELj64EllEEvT4_PKS1_S3_PKT3_S3_S6_S3_S6_S3_S6_PS1_PS4_21rocsparse_index_base_S9_S9_S9_bb.has_indirect_call, 0
	.section	.AMDGPU.csdata,"",@progbits
; Kernel info:
; codeLenInByte = 2692
; TotalNumSgprs: 47
; NumVgprs: 41
; ScratchSize: 0
; MemoryBound: 0
; FloatMode: 240
; IeeeMode: 1
; LDSByteSize: 10248 bytes/workgroup (compile time only)
; SGPRBlocks: 0
; VGPRBlocks: 5
; NumSGPRsForWavesPerEU: 47
; NumVGPRsForWavesPerEU: 41
; Occupancy: 16
; WaveLimiterHint : 1
; COMPUTE_PGM_RSRC2:SCRATCH_EN: 0
; COMPUTE_PGM_RSRC2:USER_SGPR: 6
; COMPUTE_PGM_RSRC2:TRAP_HANDLER: 0
; COMPUTE_PGM_RSRC2:TGID_X_EN: 1
; COMPUTE_PGM_RSRC2:TGID_Y_EN: 0
; COMPUTE_PGM_RSRC2:TGID_Z_EN: 0
; COMPUTE_PGM_RSRC2:TIDIG_COMP_CNT: 0
	.section	.AMDGPU.gpr_maximums,"",@progbits
	.set amdgpu.max_num_vgpr, 0
	.set amdgpu.max_num_agpr, 0
	.set amdgpu.max_num_sgpr, 0
	.section	.AMDGPU.csdata,"",@progbits
	.type	__hip_cuid_1ed6f1b3fddae73b,@object ; @__hip_cuid_1ed6f1b3fddae73b
	.section	.bss,"aw",@nobits
	.globl	__hip_cuid_1ed6f1b3fddae73b
__hip_cuid_1ed6f1b3fddae73b:
	.byte	0                               ; 0x0
	.size	__hip_cuid_1ed6f1b3fddae73b, 1

	.ident	"AMD clang version 22.0.0git (https://github.com/RadeonOpenCompute/llvm-project roc-7.2.4 26084 f58b06dce1f9c15707c5f808fd002e18c2accf7e)"
	.section	".note.GNU-stack","",@progbits
	.addrsig
	.addrsig_sym _ZN9rocsparse13shared_memoryE
	.addrsig_sym __hip_cuid_1ed6f1b3fddae73b
	.amdgpu_metadata
---
amdhsa.kernels:
  - .args:
      - .offset:         0
        .size:           4
        .value_kind:     by_value
      - .actual_access:  read_only
        .address_space:  global
        .offset:         8
        .size:           8
        .value_kind:     global_buffer
      - .actual_access:  write_only
        .address_space:  global
        .offset:         16
        .size:           8
        .value_kind:     global_buffer
      - .offset:         24
        .size:           4
        .value_kind:     hidden_block_count_x
      - .offset:         28
        .size:           4
        .value_kind:     hidden_block_count_y
      - .offset:         32
        .size:           4
        .value_kind:     hidden_block_count_z
      - .offset:         36
        .size:           2
        .value_kind:     hidden_group_size_x
      - .offset:         38
        .size:           2
        .value_kind:     hidden_group_size_y
      - .offset:         40
        .size:           2
        .value_kind:     hidden_group_size_z
      - .offset:         42
        .size:           2
        .value_kind:     hidden_remainder_x
      - .offset:         44
        .size:           2
        .value_kind:     hidden_remainder_y
      - .offset:         46
        .size:           2
        .value_kind:     hidden_remainder_z
      - .offset:         64
        .size:           8
        .value_kind:     hidden_global_offset_x
      - .offset:         72
        .size:           8
        .value_kind:     hidden_global_offset_y
      - .offset:         80
        .size:           8
        .value_kind:     hidden_global_offset_z
      - .offset:         88
        .size:           2
        .value_kind:     hidden_grid_dims
    .group_segment_fixed_size: 1024
    .kernarg_segment_align: 8
    .kernarg_segment_size: 280
    .language:       OpenCL C
    .language_version:
      - 2
      - 0
    .max_flat_workgroup_size: 256
    .name:           _ZN9rocsparseL34csrgemm_symbolic_max_row_nnz_part1ILj256EiiEEvT1_PKT0_PS1_
    .private_segment_fixed_size: 0
    .sgpr_count:     12
    .sgpr_spill_count: 0
    .symbol:         _ZN9rocsparseL34csrgemm_symbolic_max_row_nnz_part1ILj256EiiEEvT1_PKT0_PS1_.kd
    .uniform_work_group_size: 1
    .uses_dynamic_stack: false
    .vgpr_count:     6
    .vgpr_spill_count: 0
    .wavefront_size: 32
    .workgroup_processor_mode: 1
  - .args:
      - .address_space:  global
        .offset:         0
        .size:           8
        .value_kind:     global_buffer
    .group_segment_fixed_size: 1024
    .kernarg_segment_align: 8
    .kernarg_segment_size: 8
    .language:       OpenCL C
    .language_version:
      - 2
      - 0
    .max_flat_workgroup_size: 256
    .name:           _ZN9rocsparseL34csrgemm_symbolic_max_row_nnz_part2ILj256EiEEvPT0_
    .private_segment_fixed_size: 0
    .sgpr_count:     8
    .sgpr_spill_count: 0
    .symbol:         _ZN9rocsparseL34csrgemm_symbolic_max_row_nnz_part2ILj256EiEEvPT0_.kd
    .uniform_work_group_size: 1
    .uses_dynamic_stack: false
    .vgpr_count:     4
    .vgpr_spill_count: 0
    .wavefront_size: 32
    .workgroup_processor_mode: 1
  - .args:
      - .offset:         0
        .size:           4
        .value_kind:     by_value
      - .actual_access:  read_only
        .address_space:  global
        .offset:         8
        .size:           8
        .value_kind:     global_buffer
      - .actual_access:  write_only
        .address_space:  global
        .offset:         16
        .size:           8
        .value_kind:     global_buffer
      - .actual_access:  write_only
        .address_space:  global
        .offset:         24
        .size:           8
        .value_kind:     global_buffer
      - .offset:         32
        .size:           4
        .value_kind:     by_value
      - .offset:         40
        .size:           4
        .value_kind:     hidden_block_count_x
      - .offset:         44
        .size:           4
        .value_kind:     hidden_block_count_y
      - .offset:         48
        .size:           4
        .value_kind:     hidden_block_count_z
      - .offset:         52
        .size:           2
        .value_kind:     hidden_group_size_x
      - .offset:         54
        .size:           2
        .value_kind:     hidden_group_size_y
      - .offset:         56
        .size:           2
        .value_kind:     hidden_group_size_z
      - .offset:         58
        .size:           2
        .value_kind:     hidden_remainder_x
      - .offset:         60
        .size:           2
        .value_kind:     hidden_remainder_y
      - .offset:         62
        .size:           2
        .value_kind:     hidden_remainder_z
      - .offset:         80
        .size:           8
        .value_kind:     hidden_global_offset_x
      - .offset:         88
        .size:           8
        .value_kind:     hidden_global_offset_y
      - .offset:         96
        .size:           8
        .value_kind:     hidden_global_offset_z
      - .offset:         104
        .size:           2
        .value_kind:     hidden_grid_dims
    .group_segment_fixed_size: 11264
    .kernarg_segment_align: 8
    .kernarg_segment_size: 296
    .language:       OpenCL C
    .language_version:
      - 2
      - 0
    .max_flat_workgroup_size: 256
    .name:           _ZN9rocsparseL35csrgemm_symbolic_group_reduce_part2ILj256ELj11EiiEEvT2_PKT1_PS1_Pij
    .private_segment_fixed_size: 0
    .sgpr_count:     28
    .sgpr_spill_count: 0
    .symbol:         _ZN9rocsparseL35csrgemm_symbolic_group_reduce_part2ILj256ELj11EiiEEvT2_PKT1_PS1_Pij.kd
    .uniform_work_group_size: 1
    .uses_dynamic_stack: false
    .vgpr_count:     25
    .vgpr_spill_count: 0
    .wavefront_size: 32
    .workgroup_processor_mode: 1
  - .args:
      - .address_space:  global
        .offset:         0
        .size:           8
        .value_kind:     global_buffer
    .group_segment_fixed_size: 11264
    .kernarg_segment_align: 8
    .kernarg_segment_size: 8
    .language:       OpenCL C
    .language_version:
      - 2
      - 0
    .max_flat_workgroup_size: 256
    .name:           _ZN9rocsparseL35csrgemm_symbolic_group_reduce_part3ILj256ELj11EiEEvPT1_
    .private_segment_fixed_size: 0
    .sgpr_count:     8
    .sgpr_spill_count: 0
    .symbol:         _ZN9rocsparseL35csrgemm_symbolic_group_reduce_part3ILj256ELj11EiEEvPT1_.kd
    .uniform_work_group_size: 1
    .uses_dynamic_stack: false
    .vgpr_count:     24
    .vgpr_spill_count: 0
    .wavefront_size: 32
    .workgroup_processor_mode: 1
  - .args:
      - .offset:         0
        .size:           4
        .value_kind:     by_value
      - .offset:         4
        .size:           4
        .value_kind:     by_value
      - .actual_access:  read_only
        .address_space:  global
        .offset:         8
        .size:           8
        .value_kind:     global_buffer
      - .actual_access:  read_only
        .address_space:  global
        .offset:         16
        .size:           8
        .value_kind:     global_buffer
      - .actual_access:  read_only
        .address_space:  global
        .offset:         24
        .size:           8
        .value_kind:     global_buffer
      - .actual_access:  read_only
        .address_space:  global
        .offset:         32
        .size:           8
        .value_kind:     global_buffer
      - .actual_access:  read_only
        .address_space:  global
        .offset:         40
        .size:           8
        .value_kind:     global_buffer
      - .actual_access:  read_only
        .address_space:  global
        .offset:         48
        .size:           8
        .value_kind:     global_buffer
      - .actual_access:  read_only
        .address_space:  global
        .offset:         56
        .size:           8
        .value_kind:     global_buffer
      - .actual_access:  read_only
        .address_space:  global
        .offset:         64
        .size:           8
        .value_kind:     global_buffer
      - .actual_access:  read_only
        .address_space:  global
        .offset:         72
        .size:           8
        .value_kind:     global_buffer
      - .actual_access:  write_only
        .address_space:  global
        .offset:         80
        .size:           8
        .value_kind:     global_buffer
      - .offset:         88
        .size:           4
        .value_kind:     by_value
      - .offset:         92
        .size:           4
        .value_kind:     by_value
      - .offset:         96
        .size:           4
        .value_kind:     by_value
      - .offset:         100
        .size:           4
        .value_kind:     by_value
      - .offset:         104
        .size:           1
        .value_kind:     by_value
      - .offset:         105
        .size:           1
        .value_kind:     by_value
    .group_segment_fixed_size: 2048
    .kernarg_segment_align: 8
    .kernarg_segment_size: 108
    .language:       OpenCL C
    .language_version:
      - 2
      - 0
    .max_flat_workgroup_size: 256
    .name:           _ZN9rocsparseL32csrgemm_symbolic_fill_wf_per_rowILj256ELj8ELj16ELj137EiiEEvT4_S1_PKS1_S3_PKT3_S3_S6_S3_S6_S3_S6_PS1_21rocsparse_index_base_S8_S8_S8_bb
    .private_segment_fixed_size: 0
    .sgpr_count:     32
    .sgpr_spill_count: 0
    .symbol:         _ZN9rocsparseL32csrgemm_symbolic_fill_wf_per_rowILj256ELj8ELj16ELj137EiiEEvT4_S1_PKS1_S3_PKT3_S3_S6_S3_S6_S3_S6_PS1_21rocsparse_index_base_S8_S8_S8_bb.kd
    .uniform_work_group_size: 1
    .uses_dynamic_stack: false
    .vgpr_count:     24
    .vgpr_spill_count: 0
    .wavefront_size: 32
    .workgroup_processor_mode: 1
  - .args:
      - .offset:         0
        .size:           4
        .value_kind:     by_value
      - .offset:         4
        .size:           4
        .value_kind:     by_value
      - .actual_access:  read_only
        .address_space:  global
        .offset:         8
        .size:           8
        .value_kind:     global_buffer
      - .actual_access:  read_only
        .address_space:  global
        .offset:         16
        .size:           8
        .value_kind:     global_buffer
      - .actual_access:  read_only
        .address_space:  global
        .offset:         24
        .size:           8
        .value_kind:     global_buffer
      - .actual_access:  read_only
        .address_space:  global
        .offset:         32
        .size:           8
        .value_kind:     global_buffer
      - .actual_access:  read_only
        .address_space:  global
        .offset:         40
        .size:           8
        .value_kind:     global_buffer
      - .actual_access:  read_only
        .address_space:  global
        .offset:         48
        .size:           8
        .value_kind:     global_buffer
      - .actual_access:  read_only
        .address_space:  global
        .offset:         56
        .size:           8
        .value_kind:     global_buffer
      - .actual_access:  read_only
        .address_space:  global
        .offset:         64
        .size:           8
        .value_kind:     global_buffer
      - .actual_access:  read_only
        .address_space:  global
        .offset:         72
        .size:           8
        .value_kind:     global_buffer
      - .actual_access:  write_only
        .address_space:  global
        .offset:         80
        .size:           8
        .value_kind:     global_buffer
      - .offset:         88
        .size:           4
        .value_kind:     by_value
      - .offset:         92
        .size:           4
        .value_kind:     by_value
      - .offset:         96
        .size:           4
        .value_kind:     by_value
      - .offset:         100
        .size:           4
        .value_kind:     by_value
      - .offset:         104
        .size:           1
        .value_kind:     by_value
      - .offset:         105
        .size:           1
        .value_kind:     by_value
    .group_segment_fixed_size: 2048
    .kernarg_segment_align: 8
    .kernarg_segment_size: 108
    .language:       OpenCL C
    .language_version:
      - 2
      - 0
    .max_flat_workgroup_size: 256
    .name:           _ZN9rocsparseL32csrgemm_symbolic_fill_wf_per_rowILj256ELj16ELj32ELj137EiiEEvT4_S1_PKS1_S3_PKT3_S3_S6_S3_S6_S3_S6_PS1_21rocsparse_index_base_S8_S8_S8_bb
    .private_segment_fixed_size: 0
    .sgpr_count:     32
    .sgpr_spill_count: 0
    .symbol:         _ZN9rocsparseL32csrgemm_symbolic_fill_wf_per_rowILj256ELj16ELj32ELj137EiiEEvT4_S1_PKS1_S3_PKT3_S3_S6_S3_S6_S3_S6_PS1_21rocsparse_index_base_S8_S8_S8_bb.kd
    .uniform_work_group_size: 1
    .uses_dynamic_stack: false
    .vgpr_count:     40
    .vgpr_spill_count: 0
    .wavefront_size: 32
    .workgroup_processor_mode: 1
  - .args:
      - .offset:         0
        .size:           4
        .value_kind:     by_value
      - .actual_access:  read_only
        .address_space:  global
        .offset:         8
        .size:           8
        .value_kind:     global_buffer
      - .actual_access:  read_only
        .address_space:  global
        .offset:         16
        .size:           8
        .value_kind:     global_buffer
      - .actual_access:  read_only
        .address_space:  global
        .offset:         24
        .size:           8
        .value_kind:     global_buffer
      - .actual_access:  read_only
        .address_space:  global
        .offset:         32
        .size:           8
        .value_kind:     global_buffer
      - .actual_access:  read_only
        .address_space:  global
        .offset:         40
        .size:           8
        .value_kind:     global_buffer
      - .actual_access:  read_only
        .address_space:  global
        .offset:         48
        .size:           8
        .value_kind:     global_buffer
      - .actual_access:  read_only
        .address_space:  global
        .offset:         56
        .size:           8
        .value_kind:     global_buffer
      - .actual_access:  read_only
        .address_space:  global
        .offset:         64
        .size:           8
        .value_kind:     global_buffer
      - .actual_access:  read_only
        .address_space:  global
        .offset:         72
        .size:           8
        .value_kind:     global_buffer
      - .actual_access:  write_only
        .address_space:  global
        .offset:         80
        .size:           8
        .value_kind:     global_buffer
      - .offset:         88
        .size:           4
        .value_kind:     by_value
      - .offset:         92
        .size:           4
        .value_kind:     by_value
      - .offset:         96
        .size:           4
        .value_kind:     by_value
      - .offset:         100
        .size:           4
        .value_kind:     by_value
      - .offset:         104
        .size:           1
        .value_kind:     by_value
      - .offset:         105
        .size:           1
        .value_kind:     by_value
    .group_segment_fixed_size: 0
    .kernarg_segment_align: 8
    .kernarg_segment_size: 108
    .language:       OpenCL C
    .language_version:
      - 2
      - 0
    .max_flat_workgroup_size: 128
    .name:           _ZN9rocsparseL35csrgemm_symbolic_fill_block_per_rowILj128ELj16ELj256ELj137ELj32EiiEEvT5_PKS1_S3_PKT4_S3_S6_S3_S6_S3_S6_PS1_21rocsparse_index_base_S8_S8_S8_bb
    .private_segment_fixed_size: 0
    .sgpr_count:     34
    .sgpr_spill_count: 0
    .symbol:         _ZN9rocsparseL35csrgemm_symbolic_fill_block_per_rowILj128ELj16ELj256ELj137ELj32EiiEEvT5_PKS1_S3_PKT4_S3_S6_S3_S6_S3_S6_PS1_21rocsparse_index_base_S8_S8_S8_bb.kd
    .uniform_work_group_size: 1
    .uses_dynamic_stack: false
    .vgpr_count:     12
    .vgpr_spill_count: 0
    .wavefront_size: 32
    .workgroup_processor_mode: 1
  - .args:
      - .offset:         0
        .size:           4
        .value_kind:     by_value
      - .actual_access:  read_only
        .address_space:  global
        .offset:         8
        .size:           8
        .value_kind:     global_buffer
      - .actual_access:  read_only
        .address_space:  global
        .offset:         16
        .size:           8
        .value_kind:     global_buffer
      - .actual_access:  read_only
        .address_space:  global
        .offset:         24
        .size:           8
        .value_kind:     global_buffer
      - .actual_access:  read_only
        .address_space:  global
        .offset:         32
        .size:           8
        .value_kind:     global_buffer
      - .actual_access:  read_only
        .address_space:  global
        .offset:         40
        .size:           8
        .value_kind:     global_buffer
      - .actual_access:  read_only
        .address_space:  global
        .offset:         48
        .size:           8
        .value_kind:     global_buffer
      - .actual_access:  read_only
        .address_space:  global
        .offset:         56
        .size:           8
        .value_kind:     global_buffer
      - .actual_access:  read_only
        .address_space:  global
        .offset:         64
        .size:           8
        .value_kind:     global_buffer
      - .actual_access:  read_only
        .address_space:  global
        .offset:         72
        .size:           8
        .value_kind:     global_buffer
      - .actual_access:  write_only
        .address_space:  global
        .offset:         80
        .size:           8
        .value_kind:     global_buffer
      - .offset:         88
        .size:           4
        .value_kind:     by_value
      - .offset:         92
        .size:           4
        .value_kind:     by_value
      - .offset:         96
        .size:           4
        .value_kind:     by_value
      - .offset:         100
        .size:           4
        .value_kind:     by_value
      - .offset:         104
        .size:           1
        .value_kind:     by_value
      - .offset:         105
        .size:           1
        .value_kind:     by_value
    .group_segment_fixed_size: 0
    .kernarg_segment_align: 8
    .kernarg_segment_size: 108
    .language:       OpenCL C
    .language_version:
      - 2
      - 0
    .max_flat_workgroup_size: 128
    .name:           _ZN9rocsparseL35csrgemm_symbolic_fill_block_per_rowILj128ELj16ELj256ELj137ELj64EiiEEvT5_PKS1_S3_PKT4_S3_S6_S3_S6_S3_S6_PS1_21rocsparse_index_base_S8_S8_S8_bb
    .private_segment_fixed_size: 0
    .sgpr_count:     34
    .sgpr_spill_count: 0
    .symbol:         _ZN9rocsparseL35csrgemm_symbolic_fill_block_per_rowILj128ELj16ELj256ELj137ELj64EiiEEvT5_PKS1_S3_PKT4_S3_S6_S3_S6_S3_S6_PS1_21rocsparse_index_base_S8_S8_S8_bb.kd
    .uniform_work_group_size: 1
    .uses_dynamic_stack: false
    .vgpr_count:     12
    .vgpr_spill_count: 0
    .wavefront_size: 32
    .workgroup_processor_mode: 1
  - .args:
      - .offset:         0
        .size:           4
        .value_kind:     by_value
      - .actual_access:  read_only
        .address_space:  global
        .offset:         8
        .size:           8
        .value_kind:     global_buffer
      - .actual_access:  read_only
        .address_space:  global
        .offset:         16
        .size:           8
        .value_kind:     global_buffer
      - .actual_access:  read_only
        .address_space:  global
        .offset:         24
        .size:           8
        .value_kind:     global_buffer
      - .actual_access:  read_only
        .address_space:  global
        .offset:         32
        .size:           8
        .value_kind:     global_buffer
      - .actual_access:  read_only
        .address_space:  global
        .offset:         40
        .size:           8
        .value_kind:     global_buffer
      - .actual_access:  read_only
        .address_space:  global
        .offset:         48
        .size:           8
        .value_kind:     global_buffer
      - .actual_access:  read_only
        .address_space:  global
        .offset:         56
        .size:           8
        .value_kind:     global_buffer
      - .actual_access:  read_only
        .address_space:  global
        .offset:         64
        .size:           8
        .value_kind:     global_buffer
      - .actual_access:  read_only
        .address_space:  global
        .offset:         72
        .size:           8
        .value_kind:     global_buffer
      - .actual_access:  write_only
        .address_space:  global
        .offset:         80
        .size:           8
        .value_kind:     global_buffer
      - .offset:         88
        .size:           4
        .value_kind:     by_value
      - .offset:         92
        .size:           4
        .value_kind:     by_value
      - .offset:         96
        .size:           4
        .value_kind:     by_value
      - .offset:         100
        .size:           4
        .value_kind:     by_value
      - .offset:         104
        .size:           1
        .value_kind:     by_value
      - .offset:         105
        .size:           1
        .value_kind:     by_value
    .group_segment_fixed_size: 0
    .kernarg_segment_align: 8
    .kernarg_segment_size: 108
    .language:       OpenCL C
    .language_version:
      - 2
      - 0
    .max_flat_workgroup_size: 256
    .name:           _ZN9rocsparseL35csrgemm_symbolic_fill_block_per_rowILj256ELj32ELj512ELj137ELj32EiiEEvT5_PKS1_S3_PKT4_S3_S6_S3_S6_S3_S6_PS1_21rocsparse_index_base_S8_S8_S8_bb
    .private_segment_fixed_size: 0
    .sgpr_count:     34
    .sgpr_spill_count: 0
    .symbol:         _ZN9rocsparseL35csrgemm_symbolic_fill_block_per_rowILj256ELj32ELj512ELj137ELj32EiiEEvT5_PKS1_S3_PKT4_S3_S6_S3_S6_S3_S6_PS1_21rocsparse_index_base_S8_S8_S8_bb.kd
    .uniform_work_group_size: 1
    .uses_dynamic_stack: false
    .vgpr_count:     12
    .vgpr_spill_count: 0
    .wavefront_size: 32
    .workgroup_processor_mode: 1
  - .args:
      - .offset:         0
        .size:           4
        .value_kind:     by_value
      - .actual_access:  read_only
        .address_space:  global
        .offset:         8
        .size:           8
        .value_kind:     global_buffer
      - .actual_access:  read_only
        .address_space:  global
        .offset:         16
        .size:           8
        .value_kind:     global_buffer
      - .actual_access:  read_only
        .address_space:  global
        .offset:         24
        .size:           8
        .value_kind:     global_buffer
      - .actual_access:  read_only
        .address_space:  global
        .offset:         32
        .size:           8
        .value_kind:     global_buffer
      - .actual_access:  read_only
        .address_space:  global
        .offset:         40
        .size:           8
        .value_kind:     global_buffer
      - .actual_access:  read_only
        .address_space:  global
        .offset:         48
        .size:           8
        .value_kind:     global_buffer
      - .actual_access:  read_only
        .address_space:  global
        .offset:         56
        .size:           8
        .value_kind:     global_buffer
      - .actual_access:  read_only
        .address_space:  global
        .offset:         64
        .size:           8
        .value_kind:     global_buffer
      - .actual_access:  read_only
        .address_space:  global
        .offset:         72
        .size:           8
        .value_kind:     global_buffer
      - .actual_access:  write_only
        .address_space:  global
        .offset:         80
        .size:           8
        .value_kind:     global_buffer
      - .offset:         88
        .size:           4
        .value_kind:     by_value
      - .offset:         92
        .size:           4
        .value_kind:     by_value
      - .offset:         96
        .size:           4
        .value_kind:     by_value
      - .offset:         100
        .size:           4
        .value_kind:     by_value
      - .offset:         104
        .size:           1
        .value_kind:     by_value
      - .offset:         105
        .size:           1
        .value_kind:     by_value
    .group_segment_fixed_size: 0
    .kernarg_segment_align: 8
    .kernarg_segment_size: 108
    .language:       OpenCL C
    .language_version:
      - 2
      - 0
    .max_flat_workgroup_size: 256
    .name:           _ZN9rocsparseL35csrgemm_symbolic_fill_block_per_rowILj256ELj32ELj512ELj137ELj64EiiEEvT5_PKS1_S3_PKT4_S3_S6_S3_S6_S3_S6_PS1_21rocsparse_index_base_S8_S8_S8_bb
    .private_segment_fixed_size: 0
    .sgpr_count:     34
    .sgpr_spill_count: 0
    .symbol:         _ZN9rocsparseL35csrgemm_symbolic_fill_block_per_rowILj256ELj32ELj512ELj137ELj64EiiEEvT5_PKS1_S3_PKT4_S3_S6_S3_S6_S3_S6_PS1_21rocsparse_index_base_S8_S8_S8_bb.kd
    .uniform_work_group_size: 1
    .uses_dynamic_stack: false
    .vgpr_count:     12
    .vgpr_spill_count: 0
    .wavefront_size: 32
    .workgroup_processor_mode: 1
  - .args:
      - .offset:         0
        .size:           4
        .value_kind:     by_value
      - .actual_access:  read_only
        .address_space:  global
        .offset:         8
        .size:           8
        .value_kind:     global_buffer
      - .actual_access:  read_only
        .address_space:  global
        .offset:         16
        .size:           8
        .value_kind:     global_buffer
      - .actual_access:  read_only
        .address_space:  global
        .offset:         24
        .size:           8
        .value_kind:     global_buffer
      - .actual_access:  read_only
        .address_space:  global
        .offset:         32
        .size:           8
        .value_kind:     global_buffer
      - .actual_access:  read_only
        .address_space:  global
        .offset:         40
        .size:           8
        .value_kind:     global_buffer
      - .actual_access:  read_only
        .address_space:  global
        .offset:         48
        .size:           8
        .value_kind:     global_buffer
      - .actual_access:  read_only
        .address_space:  global
        .offset:         56
        .size:           8
        .value_kind:     global_buffer
      - .actual_access:  read_only
        .address_space:  global
        .offset:         64
        .size:           8
        .value_kind:     global_buffer
      - .actual_access:  read_only
        .address_space:  global
        .offset:         72
        .size:           8
        .value_kind:     global_buffer
      - .actual_access:  write_only
        .address_space:  global
        .offset:         80
        .size:           8
        .value_kind:     global_buffer
      - .offset:         88
        .size:           4
        .value_kind:     by_value
      - .offset:         92
        .size:           4
        .value_kind:     by_value
      - .offset:         96
        .size:           4
        .value_kind:     by_value
      - .offset:         100
        .size:           4
        .value_kind:     by_value
      - .offset:         104
        .size:           1
        .value_kind:     by_value
      - .offset:         105
        .size:           1
        .value_kind:     by_value
    .group_segment_fixed_size: 0
    .kernarg_segment_align: 8
    .kernarg_segment_size: 108
    .language:       OpenCL C
    .language_version:
      - 2
      - 0
    .max_flat_workgroup_size: 512
    .name:           _ZN9rocsparseL35csrgemm_symbolic_fill_block_per_rowILj512ELj32ELj1024ELj137ELj32EiiEEvT5_PKS1_S3_PKT4_S3_S6_S3_S6_S3_S6_PS1_21rocsparse_index_base_S8_S8_S8_bb
    .private_segment_fixed_size: 0
    .sgpr_count:     33
    .sgpr_spill_count: 0
    .symbol:         _ZN9rocsparseL35csrgemm_symbolic_fill_block_per_rowILj512ELj32ELj1024ELj137ELj32EiiEEvT5_PKS1_S3_PKT4_S3_S6_S3_S6_S3_S6_PS1_21rocsparse_index_base_S8_S8_S8_bb.kd
    .uniform_work_group_size: 1
    .uses_dynamic_stack: false
    .vgpr_count:     12
    .vgpr_spill_count: 0
    .wavefront_size: 32
    .workgroup_processor_mode: 1
  - .args:
      - .offset:         0
        .size:           4
        .value_kind:     by_value
      - .actual_access:  read_only
        .address_space:  global
        .offset:         8
        .size:           8
        .value_kind:     global_buffer
      - .actual_access:  read_only
        .address_space:  global
        .offset:         16
        .size:           8
        .value_kind:     global_buffer
      - .actual_access:  read_only
        .address_space:  global
        .offset:         24
        .size:           8
        .value_kind:     global_buffer
      - .actual_access:  read_only
        .address_space:  global
        .offset:         32
        .size:           8
        .value_kind:     global_buffer
      - .actual_access:  read_only
        .address_space:  global
        .offset:         40
        .size:           8
        .value_kind:     global_buffer
      - .actual_access:  read_only
        .address_space:  global
        .offset:         48
        .size:           8
        .value_kind:     global_buffer
      - .actual_access:  read_only
        .address_space:  global
        .offset:         56
        .size:           8
        .value_kind:     global_buffer
      - .actual_access:  read_only
        .address_space:  global
        .offset:         64
        .size:           8
        .value_kind:     global_buffer
      - .actual_access:  read_only
        .address_space:  global
        .offset:         72
        .size:           8
        .value_kind:     global_buffer
      - .actual_access:  write_only
        .address_space:  global
        .offset:         80
        .size:           8
        .value_kind:     global_buffer
      - .offset:         88
        .size:           4
        .value_kind:     by_value
      - .offset:         92
        .size:           4
        .value_kind:     by_value
      - .offset:         96
        .size:           4
        .value_kind:     by_value
      - .offset:         100
        .size:           4
        .value_kind:     by_value
      - .offset:         104
        .size:           1
        .value_kind:     by_value
      - .offset:         105
        .size:           1
        .value_kind:     by_value
    .group_segment_fixed_size: 0
    .kernarg_segment_align: 8
    .kernarg_segment_size: 108
    .language:       OpenCL C
    .language_version:
      - 2
      - 0
    .max_flat_workgroup_size: 512
    .name:           _ZN9rocsparseL35csrgemm_symbolic_fill_block_per_rowILj512ELj32ELj1024ELj137ELj64EiiEEvT5_PKS1_S3_PKT4_S3_S6_S3_S6_S3_S6_PS1_21rocsparse_index_base_S8_S8_S8_bb
    .private_segment_fixed_size: 0
    .sgpr_count:     33
    .sgpr_spill_count: 0
    .symbol:         _ZN9rocsparseL35csrgemm_symbolic_fill_block_per_rowILj512ELj32ELj1024ELj137ELj64EiiEEvT5_PKS1_S3_PKT4_S3_S6_S3_S6_S3_S6_PS1_21rocsparse_index_base_S8_S8_S8_bb.kd
    .uniform_work_group_size: 1
    .uses_dynamic_stack: false
    .vgpr_count:     12
    .vgpr_spill_count: 0
    .wavefront_size: 32
    .workgroup_processor_mode: 1
  - .args:
      - .offset:         0
        .size:           4
        .value_kind:     by_value
      - .actual_access:  read_only
        .address_space:  global
        .offset:         8
        .size:           8
        .value_kind:     global_buffer
      - .actual_access:  read_only
        .address_space:  global
        .offset:         16
        .size:           8
        .value_kind:     global_buffer
      - .actual_access:  read_only
        .address_space:  global
        .offset:         24
        .size:           8
        .value_kind:     global_buffer
      - .actual_access:  read_only
        .address_space:  global
        .offset:         32
        .size:           8
        .value_kind:     global_buffer
      - .actual_access:  read_only
        .address_space:  global
        .offset:         40
        .size:           8
        .value_kind:     global_buffer
      - .actual_access:  read_only
        .address_space:  global
        .offset:         48
        .size:           8
        .value_kind:     global_buffer
      - .actual_access:  read_only
        .address_space:  global
        .offset:         56
        .size:           8
        .value_kind:     global_buffer
      - .actual_access:  read_only
        .address_space:  global
        .offset:         64
        .size:           8
        .value_kind:     global_buffer
      - .actual_access:  read_only
        .address_space:  global
        .offset:         72
        .size:           8
        .value_kind:     global_buffer
      - .actual_access:  write_only
        .address_space:  global
        .offset:         80
        .size:           8
        .value_kind:     global_buffer
      - .offset:         88
        .size:           4
        .value_kind:     by_value
      - .offset:         92
        .size:           4
        .value_kind:     by_value
      - .offset:         96
        .size:           4
        .value_kind:     by_value
      - .offset:         100
        .size:           4
        .value_kind:     by_value
      - .offset:         104
        .size:           1
        .value_kind:     by_value
      - .offset:         105
        .size:           1
        .value_kind:     by_value
    .group_segment_fixed_size: 0
    .kernarg_segment_align: 8
    .kernarg_segment_size: 108
    .language:       OpenCL C
    .language_version:
      - 2
      - 0
    .max_flat_workgroup_size: 1024
    .name:           _ZN9rocsparseL35csrgemm_symbolic_fill_block_per_rowILj1024ELj32ELj2048ELj137ELj32EiiEEvT5_PKS1_S3_PKT4_S3_S6_S3_S6_S3_S6_PS1_21rocsparse_index_base_S8_S8_S8_bb
    .private_segment_fixed_size: 0
    .sgpr_count:     46
    .sgpr_spill_count: 0
    .symbol:         _ZN9rocsparseL35csrgemm_symbolic_fill_block_per_rowILj1024ELj32ELj2048ELj137ELj32EiiEEvT5_PKS1_S3_PKT4_S3_S6_S3_S6_S3_S6_PS1_21rocsparse_index_base_S8_S8_S8_bb.kd
    .uniform_work_group_size: 1
    .uses_dynamic_stack: false
    .vgpr_count:     12
    .vgpr_spill_count: 0
    .wavefront_size: 32
    .workgroup_processor_mode: 1
  - .args:
      - .offset:         0
        .size:           4
        .value_kind:     by_value
      - .actual_access:  read_only
        .address_space:  global
        .offset:         8
        .size:           8
        .value_kind:     global_buffer
      - .actual_access:  read_only
        .address_space:  global
        .offset:         16
        .size:           8
        .value_kind:     global_buffer
      - .actual_access:  read_only
        .address_space:  global
        .offset:         24
        .size:           8
        .value_kind:     global_buffer
      - .actual_access:  read_only
        .address_space:  global
        .offset:         32
        .size:           8
        .value_kind:     global_buffer
      - .actual_access:  read_only
        .address_space:  global
        .offset:         40
        .size:           8
        .value_kind:     global_buffer
      - .actual_access:  read_only
        .address_space:  global
        .offset:         48
        .size:           8
        .value_kind:     global_buffer
      - .actual_access:  read_only
        .address_space:  global
        .offset:         56
        .size:           8
        .value_kind:     global_buffer
      - .actual_access:  read_only
        .address_space:  global
        .offset:         64
        .size:           8
        .value_kind:     global_buffer
      - .actual_access:  read_only
        .address_space:  global
        .offset:         72
        .size:           8
        .value_kind:     global_buffer
      - .actual_access:  write_only
        .address_space:  global
        .offset:         80
        .size:           8
        .value_kind:     global_buffer
      - .offset:         88
        .size:           4
        .value_kind:     by_value
      - .offset:         92
        .size:           4
        .value_kind:     by_value
      - .offset:         96
        .size:           4
        .value_kind:     by_value
      - .offset:         100
        .size:           4
        .value_kind:     by_value
      - .offset:         104
        .size:           1
        .value_kind:     by_value
      - .offset:         105
        .size:           1
        .value_kind:     by_value
    .group_segment_fixed_size: 0
    .kernarg_segment_align: 8
    .kernarg_segment_size: 108
    .language:       OpenCL C
    .language_version:
      - 2
      - 0
    .max_flat_workgroup_size: 1024
    .name:           _ZN9rocsparseL35csrgemm_symbolic_fill_block_per_rowILj1024ELj32ELj2048ELj137ELj64EiiEEvT5_PKS1_S3_PKT4_S3_S6_S3_S6_S3_S6_PS1_21rocsparse_index_base_S8_S8_S8_bb
    .private_segment_fixed_size: 0
    .sgpr_count:     33
    .sgpr_spill_count: 0
    .symbol:         _ZN9rocsparseL35csrgemm_symbolic_fill_block_per_rowILj1024ELj32ELj2048ELj137ELj64EiiEEvT5_PKS1_S3_PKT4_S3_S6_S3_S6_S3_S6_PS1_21rocsparse_index_base_S8_S8_S8_bb.kd
    .uniform_work_group_size: 1
    .uses_dynamic_stack: false
    .vgpr_count:     12
    .vgpr_spill_count: 0
    .wavefront_size: 32
    .workgroup_processor_mode: 1
  - .args:
      - .offset:         0
        .size:           4
        .value_kind:     by_value
      - .actual_access:  read_only
        .address_space:  global
        .offset:         8
        .size:           8
        .value_kind:     global_buffer
      - .actual_access:  read_only
        .address_space:  global
        .offset:         16
        .size:           8
        .value_kind:     global_buffer
      - .actual_access:  read_only
        .address_space:  global
        .offset:         24
        .size:           8
        .value_kind:     global_buffer
      - .actual_access:  read_only
        .address_space:  global
        .offset:         32
        .size:           8
        .value_kind:     global_buffer
      - .actual_access:  read_only
        .address_space:  global
        .offset:         40
        .size:           8
        .value_kind:     global_buffer
      - .actual_access:  read_only
        .address_space:  global
        .offset:         48
        .size:           8
        .value_kind:     global_buffer
      - .actual_access:  read_only
        .address_space:  global
        .offset:         56
        .size:           8
        .value_kind:     global_buffer
      - .actual_access:  read_only
        .address_space:  global
        .offset:         64
        .size:           8
        .value_kind:     global_buffer
      - .actual_access:  read_only
        .address_space:  global
        .offset:         72
        .size:           8
        .value_kind:     global_buffer
      - .actual_access:  write_only
        .address_space:  global
        .offset:         80
        .size:           8
        .value_kind:     global_buffer
      - .offset:         88
        .size:           4
        .value_kind:     by_value
      - .offset:         92
        .size:           4
        .value_kind:     by_value
      - .offset:         96
        .size:           4
        .value_kind:     by_value
      - .offset:         100
        .size:           4
        .value_kind:     by_value
      - .offset:         104
        .size:           1
        .value_kind:     by_value
      - .offset:         105
        .size:           1
        .value_kind:     by_value
    .group_segment_fixed_size: 0
    .kernarg_segment_align: 8
    .kernarg_segment_size: 108
    .language:       OpenCL C
    .language_version:
      - 2
      - 0
    .max_flat_workgroup_size: 1024
    .name:           _ZN9rocsparseL35csrgemm_symbolic_fill_block_per_rowILj1024ELj64ELj4096ELj137ELj32EiiEEvT5_PKS1_S3_PKT4_S3_S6_S3_S6_S3_S6_PS1_21rocsparse_index_base_S8_S8_S8_bb
    .private_segment_fixed_size: 0
    .sgpr_count:     46
    .sgpr_spill_count: 0
    .symbol:         _ZN9rocsparseL35csrgemm_symbolic_fill_block_per_rowILj1024ELj64ELj4096ELj137ELj32EiiEEvT5_PKS1_S3_PKT4_S3_S6_S3_S6_S3_S6_PS1_21rocsparse_index_base_S8_S8_S8_bb.kd
    .uniform_work_group_size: 1
    .uses_dynamic_stack: false
    .vgpr_count:     12
    .vgpr_spill_count: 0
    .wavefront_size: 32
    .workgroup_processor_mode: 1
  - .args:
      - .offset:         0
        .size:           4
        .value_kind:     by_value
      - .actual_access:  read_only
        .address_space:  global
        .offset:         8
        .size:           8
        .value_kind:     global_buffer
      - .actual_access:  read_only
        .address_space:  global
        .offset:         16
        .size:           8
        .value_kind:     global_buffer
      - .actual_access:  read_only
        .address_space:  global
        .offset:         24
        .size:           8
        .value_kind:     global_buffer
      - .actual_access:  read_only
        .address_space:  global
        .offset:         32
        .size:           8
        .value_kind:     global_buffer
      - .actual_access:  read_only
        .address_space:  global
        .offset:         40
        .size:           8
        .value_kind:     global_buffer
      - .actual_access:  read_only
        .address_space:  global
        .offset:         48
        .size:           8
        .value_kind:     global_buffer
      - .actual_access:  read_only
        .address_space:  global
        .offset:         56
        .size:           8
        .value_kind:     global_buffer
      - .actual_access:  read_only
        .address_space:  global
        .offset:         64
        .size:           8
        .value_kind:     global_buffer
      - .actual_access:  read_only
        .address_space:  global
        .offset:         72
        .size:           8
        .value_kind:     global_buffer
      - .actual_access:  write_only
        .address_space:  global
        .offset:         80
        .size:           8
        .value_kind:     global_buffer
      - .offset:         88
        .size:           4
        .value_kind:     by_value
      - .offset:         92
        .size:           4
        .value_kind:     by_value
      - .offset:         96
        .size:           4
        .value_kind:     by_value
      - .offset:         100
        .size:           4
        .value_kind:     by_value
      - .offset:         104
        .size:           1
        .value_kind:     by_value
      - .offset:         105
        .size:           1
        .value_kind:     by_value
    .group_segment_fixed_size: 0
    .kernarg_segment_align: 8
    .kernarg_segment_size: 108
    .language:       OpenCL C
    .language_version:
      - 2
      - 0
    .max_flat_workgroup_size: 1024
    .name:           _ZN9rocsparseL35csrgemm_symbolic_fill_block_per_rowILj1024ELj64ELj4096ELj137ELj64EiiEEvT5_PKS1_S3_PKT4_S3_S6_S3_S6_S3_S6_PS1_21rocsparse_index_base_S8_S8_S8_bb
    .private_segment_fixed_size: 0
    .sgpr_count:     33
    .sgpr_spill_count: 0
    .symbol:         _ZN9rocsparseL35csrgemm_symbolic_fill_block_per_rowILj1024ELj64ELj4096ELj137ELj64EiiEEvT5_PKS1_S3_PKT4_S3_S6_S3_S6_S3_S6_PS1_21rocsparse_index_base_S8_S8_S8_bb.kd
    .uniform_work_group_size: 1
    .uses_dynamic_stack: false
    .vgpr_count:     12
    .vgpr_spill_count: 0
    .wavefront_size: 32
    .workgroup_processor_mode: 1
  - .args:
      - .offset:         0
        .size:           4
        .value_kind:     by_value
      - .actual_access:  read_only
        .address_space:  global
        .offset:         8
        .size:           8
        .value_kind:     global_buffer
      - .actual_access:  read_only
        .address_space:  global
        .offset:         16
        .size:           8
        .value_kind:     global_buffer
      - .actual_access:  read_only
        .address_space:  global
        .offset:         24
        .size:           8
        .value_kind:     global_buffer
      - .actual_access:  read_only
        .address_space:  global
        .offset:         32
        .size:           8
        .value_kind:     global_buffer
      - .actual_access:  read_only
        .address_space:  global
        .offset:         40
        .size:           8
        .value_kind:     global_buffer
      - .actual_access:  read_only
        .address_space:  global
        .offset:         48
        .size:           8
        .value_kind:     global_buffer
      - .actual_access:  read_only
        .address_space:  global
        .offset:         56
        .size:           8
        .value_kind:     global_buffer
      - .actual_access:  read_only
        .address_space:  global
        .offset:         64
        .size:           8
        .value_kind:     global_buffer
      - .actual_access:  read_only
        .address_space:  global
        .offset:         72
        .size:           8
        .value_kind:     global_buffer
      - .actual_access:  write_only
        .address_space:  global
        .offset:         80
        .size:           8
        .value_kind:     global_buffer
      - .offset:         88
        .size:           4
        .value_kind:     by_value
      - .offset:         92
        .size:           4
        .value_kind:     by_value
      - .offset:         96
        .size:           4
        .value_kind:     by_value
      - .offset:         100
        .size:           4
        .value_kind:     by_value
      - .offset:         104
        .size:           1
        .value_kind:     by_value
      - .offset:         105
        .size:           1
        .value_kind:     by_value
    .group_segment_fixed_size: 0
    .kernarg_segment_align: 8
    .kernarg_segment_size: 108
    .language:       OpenCL C
    .language_version:
      - 2
      - 0
    .max_flat_workgroup_size: 1024
    .name:           _ZN9rocsparseL35csrgemm_symbolic_fill_block_per_rowILj1024ELj64ELj8192ELj137ELj32EiiEEvT5_PKS1_S3_PKT4_S3_S6_S3_S6_S3_S6_PS1_21rocsparse_index_base_S8_S8_S8_bb
    .private_segment_fixed_size: 0
    .sgpr_count:     46
    .sgpr_spill_count: 0
    .symbol:         _ZN9rocsparseL35csrgemm_symbolic_fill_block_per_rowILj1024ELj64ELj8192ELj137ELj32EiiEEvT5_PKS1_S3_PKT4_S3_S6_S3_S6_S3_S6_PS1_21rocsparse_index_base_S8_S8_S8_bb.kd
    .uniform_work_group_size: 1
    .uses_dynamic_stack: false
    .vgpr_count:     12
    .vgpr_spill_count: 0
    .wavefront_size: 32
    .workgroup_processor_mode: 1
  - .args:
      - .offset:         0
        .size:           4
        .value_kind:     by_value
      - .actual_access:  read_only
        .address_space:  global
        .offset:         8
        .size:           8
        .value_kind:     global_buffer
      - .actual_access:  read_only
        .address_space:  global
        .offset:         16
        .size:           8
        .value_kind:     global_buffer
      - .actual_access:  read_only
        .address_space:  global
        .offset:         24
        .size:           8
        .value_kind:     global_buffer
      - .actual_access:  read_only
        .address_space:  global
        .offset:         32
        .size:           8
        .value_kind:     global_buffer
      - .actual_access:  read_only
        .address_space:  global
        .offset:         40
        .size:           8
        .value_kind:     global_buffer
      - .actual_access:  read_only
        .address_space:  global
        .offset:         48
        .size:           8
        .value_kind:     global_buffer
      - .actual_access:  read_only
        .address_space:  global
        .offset:         56
        .size:           8
        .value_kind:     global_buffer
      - .actual_access:  read_only
        .address_space:  global
        .offset:         64
        .size:           8
        .value_kind:     global_buffer
      - .actual_access:  read_only
        .address_space:  global
        .offset:         72
        .size:           8
        .value_kind:     global_buffer
      - .actual_access:  write_only
        .address_space:  global
        .offset:         80
        .size:           8
        .value_kind:     global_buffer
      - .offset:         88
        .size:           4
        .value_kind:     by_value
      - .offset:         92
        .size:           4
        .value_kind:     by_value
      - .offset:         96
        .size:           4
        .value_kind:     by_value
      - .offset:         100
        .size:           4
        .value_kind:     by_value
      - .offset:         104
        .size:           1
        .value_kind:     by_value
      - .offset:         105
        .size:           1
        .value_kind:     by_value
    .group_segment_fixed_size: 0
    .kernarg_segment_align: 8
    .kernarg_segment_size: 108
    .language:       OpenCL C
    .language_version:
      - 2
      - 0
    .max_flat_workgroup_size: 1024
    .name:           _ZN9rocsparseL35csrgemm_symbolic_fill_block_per_rowILj1024ELj64ELj8192ELj137ELj64EiiEEvT5_PKS1_S3_PKT4_S3_S6_S3_S6_S3_S6_PS1_21rocsparse_index_base_S8_S8_S8_bb
    .private_segment_fixed_size: 0
    .sgpr_count:     29
    .sgpr_spill_count: 0
    .symbol:         _ZN9rocsparseL35csrgemm_symbolic_fill_block_per_rowILj1024ELj64ELj8192ELj137ELj64EiiEEvT5_PKS1_S3_PKT4_S3_S6_S3_S6_S3_S6_PS1_21rocsparse_index_base_S8_S8_S8_bb.kd
    .uniform_work_group_size: 1
    .uses_dynamic_stack: false
    .vgpr_count:     12
    .vgpr_spill_count: 0
    .wavefront_size: 32
    .workgroup_processor_mode: 1
  - .args:
      - .offset:         0
        .size:           4
        .value_kind:     by_value
      - .actual_access:  read_only
        .address_space:  global
        .offset:         8
        .size:           8
        .value_kind:     global_buffer
      - .actual_access:  read_only
        .address_space:  global
        .offset:         16
        .size:           8
        .value_kind:     global_buffer
      - .actual_access:  read_only
        .address_space:  global
        .offset:         24
        .size:           8
        .value_kind:     global_buffer
      - .actual_access:  read_only
        .address_space:  global
        .offset:         32
        .size:           8
        .value_kind:     global_buffer
      - .actual_access:  read_only
        .address_space:  global
        .offset:         40
        .size:           8
        .value_kind:     global_buffer
      - .actual_access:  read_only
        .address_space:  global
        .offset:         48
        .size:           8
        .value_kind:     global_buffer
      - .actual_access:  read_only
        .address_space:  global
        .offset:         56
        .size:           8
        .value_kind:     global_buffer
      - .actual_access:  read_only
        .address_space:  global
        .offset:         64
        .size:           8
        .value_kind:     global_buffer
      - .actual_access:  read_only
        .address_space:  global
        .offset:         72
        .size:           8
        .value_kind:     global_buffer
      - .actual_access:  write_only
        .address_space:  global
        .offset:         80
        .size:           8
        .value_kind:     global_buffer
      - .offset:         88
        .size:           4
        .value_kind:     by_value
      - .offset:         92
        .size:           4
        .value_kind:     by_value
      - .offset:         96
        .size:           4
        .value_kind:     by_value
      - .offset:         100
        .size:           4
        .value_kind:     by_value
      - .offset:         104
        .size:           1
        .value_kind:     by_value
      - .offset:         105
        .size:           1
        .value_kind:     by_value
    .group_segment_fixed_size: 0
    .kernarg_segment_align: 8
    .kernarg_segment_size: 108
    .language:       OpenCL C
    .language_version:
      - 2
      - 0
    .max_flat_workgroup_size: 1024
    .name:           _ZN9rocsparseL35csrgemm_symbolic_fill_block_per_rowILj1024ELj64ELj16384ELj137ELj32EiiEEvT5_PKS1_S3_PKT4_S3_S6_S3_S6_S3_S6_PS1_21rocsparse_index_base_S8_S8_S8_bb
    .private_segment_fixed_size: 0
    .sgpr_count:     76
    .sgpr_spill_count: 0
    .symbol:         _ZN9rocsparseL35csrgemm_symbolic_fill_block_per_rowILj1024ELj64ELj16384ELj137ELj32EiiEEvT5_PKS1_S3_PKT4_S3_S6_S3_S6_S3_S6_PS1_21rocsparse_index_base_S8_S8_S8_bb.kd
    .uniform_work_group_size: 1
    .uses_dynamic_stack: false
    .vgpr_count:     12
    .vgpr_spill_count: 0
    .wavefront_size: 32
    .workgroup_processor_mode: 1
  - .args:
      - .offset:         0
        .size:           4
        .value_kind:     by_value
      - .actual_access:  read_only
        .address_space:  global
        .offset:         8
        .size:           8
        .value_kind:     global_buffer
      - .actual_access:  read_only
        .address_space:  global
        .offset:         16
        .size:           8
        .value_kind:     global_buffer
      - .actual_access:  read_only
        .address_space:  global
        .offset:         24
        .size:           8
        .value_kind:     global_buffer
      - .actual_access:  read_only
        .address_space:  global
        .offset:         32
        .size:           8
        .value_kind:     global_buffer
      - .actual_access:  read_only
        .address_space:  global
        .offset:         40
        .size:           8
        .value_kind:     global_buffer
      - .actual_access:  read_only
        .address_space:  global
        .offset:         48
        .size:           8
        .value_kind:     global_buffer
      - .actual_access:  read_only
        .address_space:  global
        .offset:         56
        .size:           8
        .value_kind:     global_buffer
      - .actual_access:  read_only
        .address_space:  global
        .offset:         64
        .size:           8
        .value_kind:     global_buffer
      - .actual_access:  read_only
        .address_space:  global
        .offset:         72
        .size:           8
        .value_kind:     global_buffer
      - .actual_access:  write_only
        .address_space:  global
        .offset:         80
        .size:           8
        .value_kind:     global_buffer
      - .offset:         88
        .size:           4
        .value_kind:     by_value
      - .offset:         92
        .size:           4
        .value_kind:     by_value
      - .offset:         96
        .size:           4
        .value_kind:     by_value
      - .offset:         100
        .size:           4
        .value_kind:     by_value
      - .offset:         104
        .size:           1
        .value_kind:     by_value
      - .offset:         105
        .size:           1
        .value_kind:     by_value
    .group_segment_fixed_size: 0
    .kernarg_segment_align: 8
    .kernarg_segment_size: 108
    .language:       OpenCL C
    .language_version:
      - 2
      - 0
    .max_flat_workgroup_size: 1024
    .name:           _ZN9rocsparseL35csrgemm_symbolic_fill_block_per_rowILj1024ELj64ELj16384ELj137ELj64EiiEEvT5_PKS1_S3_PKT4_S3_S6_S3_S6_S3_S6_PS1_21rocsparse_index_base_S8_S8_S8_bb
    .private_segment_fixed_size: 0
    .sgpr_count:     44
    .sgpr_spill_count: 0
    .symbol:         _ZN9rocsparseL35csrgemm_symbolic_fill_block_per_rowILj1024ELj64ELj16384ELj137ELj64EiiEEvT5_PKS1_S3_PKT4_S3_S6_S3_S6_S3_S6_PS1_21rocsparse_index_base_S8_S8_S8_bb.kd
    .uniform_work_group_size: 1
    .uses_dynamic_stack: false
    .vgpr_count:     12
    .vgpr_spill_count: 0
    .wavefront_size: 32
    .workgroup_processor_mode: 1
  - .args:
      - .offset:         0
        .size:           4
        .value_kind:     by_value
      - .actual_access:  read_only
        .address_space:  global
        .offset:         8
        .size:           8
        .value_kind:     global_buffer
      - .actual_access:  read_only
        .address_space:  global
        .offset:         16
        .size:           8
        .value_kind:     global_buffer
      - .actual_access:  read_only
        .address_space:  global
        .offset:         24
        .size:           8
        .value_kind:     global_buffer
      - .actual_access:  read_only
        .address_space:  global
        .offset:         32
        .size:           8
        .value_kind:     global_buffer
      - .actual_access:  read_only
        .address_space:  global
        .offset:         40
        .size:           8
        .value_kind:     global_buffer
      - .actual_access:  read_only
        .address_space:  global
        .offset:         48
        .size:           8
        .value_kind:     global_buffer
      - .actual_access:  read_only
        .address_space:  global
        .offset:         56
        .size:           8
        .value_kind:     global_buffer
      - .actual_access:  read_only
        .address_space:  global
        .offset:         64
        .size:           8
        .value_kind:     global_buffer
      - .actual_access:  read_only
        .address_space:  global
        .offset:         72
        .size:           8
        .value_kind:     global_buffer
      - .actual_access:  write_only
        .address_space:  global
        .offset:         80
        .size:           8
        .value_kind:     global_buffer
      - .offset:         88
        .size:           4
        .value_kind:     by_value
      - .offset:         92
        .size:           4
        .value_kind:     by_value
      - .offset:         96
        .size:           4
        .value_kind:     by_value
      - .offset:         100
        .size:           4
        .value_kind:     by_value
      - .offset:         104
        .size:           1
        .value_kind:     by_value
      - .offset:         105
        .size:           1
        .value_kind:     by_value
    .group_segment_fixed_size: 0
    .kernarg_segment_align: 8
    .kernarg_segment_size: 108
    .language:       OpenCL C
    .language_version:
      - 2
      - 0
    .max_flat_workgroup_size: 1024
    .name:           _ZN9rocsparseL35csrgemm_symbolic_fill_block_per_rowILj1024ELj64ELj32768ELj137ELj32EiiEEvT5_PKS1_S3_PKT4_S3_S6_S3_S6_S3_S6_PS1_21rocsparse_index_base_S8_S8_S8_bb
    .private_segment_fixed_size: 0
    .sgpr_count:     76
    .sgpr_spill_count: 0
    .symbol:         _ZN9rocsparseL35csrgemm_symbolic_fill_block_per_rowILj1024ELj64ELj32768ELj137ELj32EiiEEvT5_PKS1_S3_PKT4_S3_S6_S3_S6_S3_S6_PS1_21rocsparse_index_base_S8_S8_S8_bb.kd
    .uniform_work_group_size: 1
    .uses_dynamic_stack: false
    .vgpr_count:     12
    .vgpr_spill_count: 0
    .wavefront_size: 32
    .workgroup_processor_mode: 1
  - .args:
      - .offset:         0
        .size:           4
        .value_kind:     by_value
      - .actual_access:  read_only
        .address_space:  global
        .offset:         8
        .size:           8
        .value_kind:     global_buffer
      - .actual_access:  read_only
        .address_space:  global
        .offset:         16
        .size:           8
        .value_kind:     global_buffer
      - .actual_access:  read_only
        .address_space:  global
        .offset:         24
        .size:           8
        .value_kind:     global_buffer
      - .actual_access:  read_only
        .address_space:  global
        .offset:         32
        .size:           8
        .value_kind:     global_buffer
      - .actual_access:  read_only
        .address_space:  global
        .offset:         40
        .size:           8
        .value_kind:     global_buffer
      - .actual_access:  read_only
        .address_space:  global
        .offset:         48
        .size:           8
        .value_kind:     global_buffer
      - .actual_access:  read_only
        .address_space:  global
        .offset:         56
        .size:           8
        .value_kind:     global_buffer
      - .actual_access:  read_only
        .address_space:  global
        .offset:         64
        .size:           8
        .value_kind:     global_buffer
      - .actual_access:  read_only
        .address_space:  global
        .offset:         72
        .size:           8
        .value_kind:     global_buffer
      - .actual_access:  write_only
        .address_space:  global
        .offset:         80
        .size:           8
        .value_kind:     global_buffer
      - .offset:         88
        .size:           4
        .value_kind:     by_value
      - .offset:         92
        .size:           4
        .value_kind:     by_value
      - .offset:         96
        .size:           4
        .value_kind:     by_value
      - .offset:         100
        .size:           4
        .value_kind:     by_value
      - .offset:         104
        .size:           1
        .value_kind:     by_value
      - .offset:         105
        .size:           1
        .value_kind:     by_value
    .group_segment_fixed_size: 0
    .kernarg_segment_align: 8
    .kernarg_segment_size: 108
    .language:       OpenCL C
    .language_version:
      - 2
      - 0
    .max_flat_workgroup_size: 1024
    .name:           _ZN9rocsparseL35csrgemm_symbolic_fill_block_per_rowILj1024ELj64ELj32768ELj137ELj64EiiEEvT5_PKS1_S3_PKT4_S3_S6_S3_S6_S3_S6_PS1_21rocsparse_index_base_S8_S8_S8_bb
    .private_segment_fixed_size: 0
    .sgpr_count:     44
    .sgpr_spill_count: 0
    .symbol:         _ZN9rocsparseL35csrgemm_symbolic_fill_block_per_rowILj1024ELj64ELj32768ELj137ELj64EiiEEvT5_PKS1_S3_PKT4_S3_S6_S3_S6_S3_S6_PS1_21rocsparse_index_base_S8_S8_S8_bb.kd
    .uniform_work_group_size: 1
    .uses_dynamic_stack: false
    .vgpr_count:     12
    .vgpr_spill_count: 0
    .wavefront_size: 32
    .workgroup_processor_mode: 1
  - .args:
      - .offset:         0
        .size:           4
        .value_kind:     by_value
      - .actual_access:  read_only
        .address_space:  global
        .offset:         8
        .size:           8
        .value_kind:     global_buffer
      - .actual_access:  read_only
        .address_space:  global
        .offset:         16
        .size:           8
        .value_kind:     global_buffer
      - .actual_access:  read_only
        .address_space:  global
        .offset:         24
        .size:           8
        .value_kind:     global_buffer
      - .actual_access:  read_only
        .address_space:  global
        .offset:         32
        .size:           8
        .value_kind:     global_buffer
      - .actual_access:  read_only
        .address_space:  global
        .offset:         40
        .size:           8
        .value_kind:     global_buffer
      - .actual_access:  read_only
        .address_space:  global
        .offset:         48
        .size:           8
        .value_kind:     global_buffer
      - .actual_access:  read_only
        .address_space:  global
        .offset:         56
        .size:           8
        .value_kind:     global_buffer
      - .actual_access:  read_only
        .address_space:  global
        .offset:         64
        .size:           8
        .value_kind:     global_buffer
      - .actual_access:  read_only
        .address_space:  global
        .offset:         72
        .size:           8
        .value_kind:     global_buffer
      - .actual_access:  write_only
        .address_space:  global
        .offset:         80
        .size:           8
        .value_kind:     global_buffer
      - .address_space:  global
        .offset:         88
        .size:           8
        .value_kind:     global_buffer
      - .offset:         96
        .size:           4
        .value_kind:     by_value
      - .offset:         100
        .size:           4
        .value_kind:     by_value
      - .offset:         104
        .size:           4
        .value_kind:     by_value
      - .offset:         108
        .size:           4
        .value_kind:     by_value
      - .offset:         112
        .size:           1
        .value_kind:     by_value
      - .offset:         113
        .size:           1
        .value_kind:     by_value
    .group_segment_fixed_size: 10244
    .kernarg_segment_align: 8
    .kernarg_segment_size: 116
    .language:       OpenCL C
    .language_version:
      - 2
      - 0
    .max_flat_workgroup_size: 512
    .name:           _ZN9rocsparseL45csrgemm_symbolic_fill_block_per_row_multipassILj512ELj16ELj2048ELj32EiiEEvT4_PKS1_S3_PKT3_S3_S6_S3_S6_S3_S6_PS1_PS4_21rocsparse_index_base_S9_S9_S9_bb
    .private_segment_fixed_size: 0
    .sgpr_count:     54
    .sgpr_spill_count: 0
    .symbol:         _ZN9rocsparseL45csrgemm_symbolic_fill_block_per_row_multipassILj512ELj16ELj2048ELj32EiiEEvT4_PKS1_S3_PKT3_S3_S6_S3_S6_S3_S6_PS1_PS4_21rocsparse_index_base_S9_S9_S9_bb.kd
    .uniform_work_group_size: 1
    .uses_dynamic_stack: false
    .vgpr_count:     31
    .vgpr_spill_count: 0
    .wavefront_size: 32
    .workgroup_processor_mode: 1
  - .args:
      - .offset:         0
        .size:           4
        .value_kind:     by_value
      - .actual_access:  read_only
        .address_space:  global
        .offset:         8
        .size:           8
        .value_kind:     global_buffer
      - .actual_access:  read_only
        .address_space:  global
        .offset:         16
        .size:           8
        .value_kind:     global_buffer
      - .actual_access:  read_only
        .address_space:  global
        .offset:         24
        .size:           8
        .value_kind:     global_buffer
      - .actual_access:  read_only
        .address_space:  global
        .offset:         32
        .size:           8
        .value_kind:     global_buffer
      - .actual_access:  read_only
        .address_space:  global
        .offset:         40
        .size:           8
        .value_kind:     global_buffer
      - .actual_access:  read_only
        .address_space:  global
        .offset:         48
        .size:           8
        .value_kind:     global_buffer
      - .actual_access:  read_only
        .address_space:  global
        .offset:         56
        .size:           8
        .value_kind:     global_buffer
      - .actual_access:  read_only
        .address_space:  global
        .offset:         64
        .size:           8
        .value_kind:     global_buffer
      - .actual_access:  read_only
        .address_space:  global
        .offset:         72
        .size:           8
        .value_kind:     global_buffer
      - .actual_access:  write_only
        .address_space:  global
        .offset:         80
        .size:           8
        .value_kind:     global_buffer
      - .address_space:  global
        .offset:         88
        .size:           8
        .value_kind:     global_buffer
      - .offset:         96
        .size:           4
        .value_kind:     by_value
      - .offset:         100
        .size:           4
        .value_kind:     by_value
      - .offset:         104
        .size:           4
        .value_kind:     by_value
      - .offset:         108
        .size:           4
        .value_kind:     by_value
      - .offset:         112
        .size:           1
        .value_kind:     by_value
      - .offset:         113
        .size:           1
        .value_kind:     by_value
    .group_segment_fixed_size: 10244
    .kernarg_segment_align: 8
    .kernarg_segment_size: 116
    .language:       OpenCL C
    .language_version:
      - 2
      - 0
    .max_flat_workgroup_size: 512
    .name:           _ZN9rocsparseL45csrgemm_symbolic_fill_block_per_row_multipassILj512ELj16ELj2048ELj64EiiEEvT4_PKS1_S3_PKT3_S3_S6_S3_S6_S3_S6_PS1_PS4_21rocsparse_index_base_S9_S9_S9_bb
    .private_segment_fixed_size: 0
    .sgpr_count:     46
    .sgpr_spill_count: 0
    .symbol:         _ZN9rocsparseL45csrgemm_symbolic_fill_block_per_row_multipassILj512ELj16ELj2048ELj64EiiEEvT4_PKS1_S3_PKT3_S3_S6_S3_S6_S3_S6_PS1_PS4_21rocsparse_index_base_S9_S9_S9_bb.kd
    .uniform_work_group_size: 1
    .uses_dynamic_stack: false
    .vgpr_count:     25
    .vgpr_spill_count: 0
    .wavefront_size: 32
    .workgroup_processor_mode: 1
  - .args:
      - .offset:         0
        .size:           4
        .value_kind:     by_value
      - .actual_access:  read_only
        .address_space:  global
        .offset:         8
        .size:           8
        .value_kind:     global_buffer
      - .actual_access:  write_only
        .address_space:  global
        .offset:         16
        .size:           8
        .value_kind:     global_buffer
      - .offset:         24
        .size:           4
        .value_kind:     hidden_block_count_x
      - .offset:         28
        .size:           4
        .value_kind:     hidden_block_count_y
      - .offset:         32
        .size:           4
        .value_kind:     hidden_block_count_z
      - .offset:         36
        .size:           2
        .value_kind:     hidden_group_size_x
      - .offset:         38
        .size:           2
        .value_kind:     hidden_group_size_y
      - .offset:         40
        .size:           2
        .value_kind:     hidden_group_size_z
      - .offset:         42
        .size:           2
        .value_kind:     hidden_remainder_x
      - .offset:         44
        .size:           2
        .value_kind:     hidden_remainder_y
      - .offset:         46
        .size:           2
        .value_kind:     hidden_remainder_z
      - .offset:         64
        .size:           8
        .value_kind:     hidden_global_offset_x
      - .offset:         72
        .size:           8
        .value_kind:     hidden_global_offset_y
      - .offset:         80
        .size:           8
        .value_kind:     hidden_global_offset_z
      - .offset:         88
        .size:           2
        .value_kind:     hidden_grid_dims
    .group_segment_fixed_size: 1024
    .kernarg_segment_align: 8
    .kernarg_segment_size: 280
    .language:       OpenCL C
    .language_version:
      - 2
      - 0
    .max_flat_workgroup_size: 256
    .name:           _ZN9rocsparseL34csrgemm_symbolic_max_row_nnz_part1ILj256EliEEvT1_PKT0_PS1_
    .private_segment_fixed_size: 0
    .sgpr_count:     12
    .sgpr_spill_count: 0
    .symbol:         _ZN9rocsparseL34csrgemm_symbolic_max_row_nnz_part1ILj256EliEEvT1_PKT0_PS1_.kd
    .uniform_work_group_size: 1
    .uses_dynamic_stack: false
    .vgpr_count:     8
    .vgpr_spill_count: 0
    .wavefront_size: 32
    .workgroup_processor_mode: 1
  - .args:
      - .offset:         0
        .size:           4
        .value_kind:     by_value
      - .actual_access:  read_only
        .address_space:  global
        .offset:         8
        .size:           8
        .value_kind:     global_buffer
      - .actual_access:  write_only
        .address_space:  global
        .offset:         16
        .size:           8
        .value_kind:     global_buffer
      - .actual_access:  write_only
        .address_space:  global
        .offset:         24
        .size:           8
        .value_kind:     global_buffer
      - .offset:         32
        .size:           4
        .value_kind:     by_value
      - .offset:         40
        .size:           4
        .value_kind:     hidden_block_count_x
      - .offset:         44
        .size:           4
        .value_kind:     hidden_block_count_y
      - .offset:         48
        .size:           4
        .value_kind:     hidden_block_count_z
      - .offset:         52
        .size:           2
        .value_kind:     hidden_group_size_x
      - .offset:         54
        .size:           2
        .value_kind:     hidden_group_size_y
      - .offset:         56
        .size:           2
        .value_kind:     hidden_group_size_z
      - .offset:         58
        .size:           2
        .value_kind:     hidden_remainder_x
      - .offset:         60
        .size:           2
        .value_kind:     hidden_remainder_y
      - .offset:         62
        .size:           2
        .value_kind:     hidden_remainder_z
      - .offset:         80
        .size:           8
        .value_kind:     hidden_global_offset_x
      - .offset:         88
        .size:           8
        .value_kind:     hidden_global_offset_y
      - .offset:         96
        .size:           8
        .value_kind:     hidden_global_offset_z
      - .offset:         104
        .size:           2
        .value_kind:     hidden_grid_dims
    .group_segment_fixed_size: 11264
    .kernarg_segment_align: 8
    .kernarg_segment_size: 296
    .language:       OpenCL C
    .language_version:
      - 2
      - 0
    .max_flat_workgroup_size: 256
    .name:           _ZN9rocsparseL35csrgemm_symbolic_group_reduce_part2ILj256ELj11EliEEvT2_PKT1_PS1_Pij
    .private_segment_fixed_size: 0
    .sgpr_count:     28
    .sgpr_spill_count: 0
    .symbol:         _ZN9rocsparseL35csrgemm_symbolic_group_reduce_part2ILj256ELj11EliEEvT2_PKT1_PS1_Pij.kd
    .uniform_work_group_size: 1
    .uses_dynamic_stack: false
    .vgpr_count:     24
    .vgpr_spill_count: 0
    .wavefront_size: 32
    .workgroup_processor_mode: 1
  - .args:
      - .offset:         0
        .size:           4
        .value_kind:     by_value
      - .offset:         4
        .size:           4
        .value_kind:     by_value
      - .actual_access:  read_only
        .address_space:  global
        .offset:         8
        .size:           8
        .value_kind:     global_buffer
      - .actual_access:  read_only
        .address_space:  global
        .offset:         16
        .size:           8
        .value_kind:     global_buffer
      - .actual_access:  read_only
        .address_space:  global
        .offset:         24
        .size:           8
        .value_kind:     global_buffer
      - .actual_access:  read_only
        .address_space:  global
        .offset:         32
        .size:           8
        .value_kind:     global_buffer
      - .actual_access:  read_only
        .address_space:  global
        .offset:         40
        .size:           8
        .value_kind:     global_buffer
      - .actual_access:  read_only
        .address_space:  global
        .offset:         48
        .size:           8
        .value_kind:     global_buffer
      - .actual_access:  read_only
        .address_space:  global
        .offset:         56
        .size:           8
        .value_kind:     global_buffer
      - .actual_access:  read_only
        .address_space:  global
        .offset:         64
        .size:           8
        .value_kind:     global_buffer
      - .actual_access:  read_only
        .address_space:  global
        .offset:         72
        .size:           8
        .value_kind:     global_buffer
      - .actual_access:  write_only
        .address_space:  global
        .offset:         80
        .size:           8
        .value_kind:     global_buffer
      - .offset:         88
        .size:           4
        .value_kind:     by_value
      - .offset:         92
        .size:           4
        .value_kind:     by_value
      - .offset:         96
        .size:           4
        .value_kind:     by_value
      - .offset:         100
        .size:           4
        .value_kind:     by_value
      - .offset:         104
        .size:           1
        .value_kind:     by_value
      - .offset:         105
        .size:           1
        .value_kind:     by_value
    .group_segment_fixed_size: 2048
    .kernarg_segment_align: 8
    .kernarg_segment_size: 108
    .language:       OpenCL C
    .language_version:
      - 2
      - 0
    .max_flat_workgroup_size: 256
    .name:           _ZN9rocsparseL32csrgemm_symbolic_fill_wf_per_rowILj256ELj8ELj16ELj137EliEEvT4_S1_PKS1_S3_PKT3_S3_S6_S3_S6_S3_S6_PS1_21rocsparse_index_base_S8_S8_S8_bb
    .private_segment_fixed_size: 0
    .sgpr_count:     32
    .sgpr_spill_count: 0
    .symbol:         _ZN9rocsparseL32csrgemm_symbolic_fill_wf_per_rowILj256ELj8ELj16ELj137EliEEvT4_S1_PKS1_S3_PKT3_S3_S6_S3_S6_S3_S6_PS1_21rocsparse_index_base_S8_S8_S8_bb.kd
    .uniform_work_group_size: 1
    .uses_dynamic_stack: false
    .vgpr_count:     25
    .vgpr_spill_count: 0
    .wavefront_size: 32
    .workgroup_processor_mode: 1
  - .args:
      - .offset:         0
        .size:           4
        .value_kind:     by_value
      - .offset:         4
        .size:           4
        .value_kind:     by_value
      - .actual_access:  read_only
        .address_space:  global
        .offset:         8
        .size:           8
        .value_kind:     global_buffer
      - .actual_access:  read_only
        .address_space:  global
        .offset:         16
        .size:           8
        .value_kind:     global_buffer
      - .actual_access:  read_only
        .address_space:  global
        .offset:         24
        .size:           8
        .value_kind:     global_buffer
      - .actual_access:  read_only
        .address_space:  global
        .offset:         32
        .size:           8
        .value_kind:     global_buffer
      - .actual_access:  read_only
        .address_space:  global
        .offset:         40
        .size:           8
        .value_kind:     global_buffer
      - .actual_access:  read_only
        .address_space:  global
        .offset:         48
        .size:           8
        .value_kind:     global_buffer
      - .actual_access:  read_only
        .address_space:  global
        .offset:         56
        .size:           8
        .value_kind:     global_buffer
      - .actual_access:  read_only
        .address_space:  global
        .offset:         64
        .size:           8
        .value_kind:     global_buffer
      - .actual_access:  read_only
        .address_space:  global
        .offset:         72
        .size:           8
        .value_kind:     global_buffer
      - .actual_access:  write_only
        .address_space:  global
        .offset:         80
        .size:           8
        .value_kind:     global_buffer
      - .offset:         88
        .size:           4
        .value_kind:     by_value
      - .offset:         92
        .size:           4
        .value_kind:     by_value
      - .offset:         96
        .size:           4
        .value_kind:     by_value
      - .offset:         100
        .size:           4
        .value_kind:     by_value
      - .offset:         104
        .size:           1
        .value_kind:     by_value
      - .offset:         105
        .size:           1
        .value_kind:     by_value
    .group_segment_fixed_size: 2048
    .kernarg_segment_align: 8
    .kernarg_segment_size: 108
    .language:       OpenCL C
    .language_version:
      - 2
      - 0
    .max_flat_workgroup_size: 256
    .name:           _ZN9rocsparseL32csrgemm_symbolic_fill_wf_per_rowILj256ELj16ELj32ELj137EliEEvT4_S1_PKS1_S3_PKT3_S3_S6_S3_S6_S3_S6_PS1_21rocsparse_index_base_S8_S8_S8_bb
    .private_segment_fixed_size: 0
    .sgpr_count:     32
    .sgpr_spill_count: 0
    .symbol:         _ZN9rocsparseL32csrgemm_symbolic_fill_wf_per_rowILj256ELj16ELj32ELj137EliEEvT4_S1_PKS1_S3_PKT3_S3_S6_S3_S6_S3_S6_PS1_21rocsparse_index_base_S8_S8_S8_bb.kd
    .uniform_work_group_size: 1
    .uses_dynamic_stack: false
    .vgpr_count:     41
    .vgpr_spill_count: 0
    .wavefront_size: 32
    .workgroup_processor_mode: 1
  - .args:
      - .offset:         0
        .size:           4
        .value_kind:     by_value
      - .actual_access:  read_only
        .address_space:  global
        .offset:         8
        .size:           8
        .value_kind:     global_buffer
      - .actual_access:  read_only
        .address_space:  global
        .offset:         16
        .size:           8
        .value_kind:     global_buffer
      - .actual_access:  read_only
        .address_space:  global
        .offset:         24
        .size:           8
        .value_kind:     global_buffer
      - .actual_access:  read_only
        .address_space:  global
        .offset:         32
        .size:           8
        .value_kind:     global_buffer
      - .actual_access:  read_only
        .address_space:  global
        .offset:         40
        .size:           8
        .value_kind:     global_buffer
      - .actual_access:  read_only
        .address_space:  global
        .offset:         48
        .size:           8
        .value_kind:     global_buffer
      - .actual_access:  read_only
        .address_space:  global
        .offset:         56
        .size:           8
        .value_kind:     global_buffer
      - .actual_access:  read_only
        .address_space:  global
        .offset:         64
        .size:           8
        .value_kind:     global_buffer
      - .actual_access:  read_only
        .address_space:  global
        .offset:         72
        .size:           8
        .value_kind:     global_buffer
      - .actual_access:  write_only
        .address_space:  global
        .offset:         80
        .size:           8
        .value_kind:     global_buffer
      - .offset:         88
        .size:           4
        .value_kind:     by_value
      - .offset:         92
        .size:           4
        .value_kind:     by_value
      - .offset:         96
        .size:           4
        .value_kind:     by_value
      - .offset:         100
        .size:           4
        .value_kind:     by_value
      - .offset:         104
        .size:           1
        .value_kind:     by_value
      - .offset:         105
        .size:           1
        .value_kind:     by_value
    .group_segment_fixed_size: 0
    .kernarg_segment_align: 8
    .kernarg_segment_size: 108
    .language:       OpenCL C
    .language_version:
      - 2
      - 0
    .max_flat_workgroup_size: 128
    .name:           _ZN9rocsparseL35csrgemm_symbolic_fill_block_per_rowILj128ELj16ELj256ELj137ELj32EliEEvT5_PKS1_S3_PKT4_S3_S6_S3_S6_S3_S6_PS1_21rocsparse_index_base_S8_S8_S8_bb
    .private_segment_fixed_size: 0
    .sgpr_count:     42
    .sgpr_spill_count: 0
    .symbol:         _ZN9rocsparseL35csrgemm_symbolic_fill_block_per_rowILj128ELj16ELj256ELj137ELj32EliEEvT5_PKS1_S3_PKT4_S3_S6_S3_S6_S3_S6_PS1_21rocsparse_index_base_S8_S8_S8_bb.kd
    .uniform_work_group_size: 1
    .uses_dynamic_stack: false
    .vgpr_count:     15
    .vgpr_spill_count: 0
    .wavefront_size: 32
    .workgroup_processor_mode: 1
  - .args:
      - .offset:         0
        .size:           4
        .value_kind:     by_value
      - .actual_access:  read_only
        .address_space:  global
        .offset:         8
        .size:           8
        .value_kind:     global_buffer
      - .actual_access:  read_only
        .address_space:  global
        .offset:         16
        .size:           8
        .value_kind:     global_buffer
      - .actual_access:  read_only
        .address_space:  global
        .offset:         24
        .size:           8
        .value_kind:     global_buffer
      - .actual_access:  read_only
        .address_space:  global
        .offset:         32
        .size:           8
        .value_kind:     global_buffer
      - .actual_access:  read_only
        .address_space:  global
        .offset:         40
        .size:           8
        .value_kind:     global_buffer
      - .actual_access:  read_only
        .address_space:  global
        .offset:         48
        .size:           8
        .value_kind:     global_buffer
      - .actual_access:  read_only
        .address_space:  global
        .offset:         56
        .size:           8
        .value_kind:     global_buffer
      - .actual_access:  read_only
        .address_space:  global
        .offset:         64
        .size:           8
        .value_kind:     global_buffer
      - .actual_access:  read_only
        .address_space:  global
        .offset:         72
        .size:           8
        .value_kind:     global_buffer
      - .actual_access:  write_only
        .address_space:  global
        .offset:         80
        .size:           8
        .value_kind:     global_buffer
      - .offset:         88
        .size:           4
        .value_kind:     by_value
      - .offset:         92
        .size:           4
        .value_kind:     by_value
      - .offset:         96
        .size:           4
        .value_kind:     by_value
      - .offset:         100
        .size:           4
        .value_kind:     by_value
      - .offset:         104
        .size:           1
        .value_kind:     by_value
      - .offset:         105
        .size:           1
        .value_kind:     by_value
    .group_segment_fixed_size: 0
    .kernarg_segment_align: 8
    .kernarg_segment_size: 108
    .language:       OpenCL C
    .language_version:
      - 2
      - 0
    .max_flat_workgroup_size: 128
    .name:           _ZN9rocsparseL35csrgemm_symbolic_fill_block_per_rowILj128ELj16ELj256ELj137ELj64EliEEvT5_PKS1_S3_PKT4_S3_S6_S3_S6_S3_S6_PS1_21rocsparse_index_base_S8_S8_S8_bb
    .private_segment_fixed_size: 0
    .sgpr_count:     37
    .sgpr_spill_count: 0
    .symbol:         _ZN9rocsparseL35csrgemm_symbolic_fill_block_per_rowILj128ELj16ELj256ELj137ELj64EliEEvT5_PKS1_S3_PKT4_S3_S6_S3_S6_S3_S6_PS1_21rocsparse_index_base_S8_S8_S8_bb.kd
    .uniform_work_group_size: 1
    .uses_dynamic_stack: false
    .vgpr_count:     16
    .vgpr_spill_count: 0
    .wavefront_size: 32
    .workgroup_processor_mode: 1
  - .args:
      - .offset:         0
        .size:           4
        .value_kind:     by_value
      - .actual_access:  read_only
        .address_space:  global
        .offset:         8
        .size:           8
        .value_kind:     global_buffer
      - .actual_access:  read_only
        .address_space:  global
        .offset:         16
        .size:           8
        .value_kind:     global_buffer
      - .actual_access:  read_only
        .address_space:  global
        .offset:         24
        .size:           8
        .value_kind:     global_buffer
      - .actual_access:  read_only
        .address_space:  global
        .offset:         32
        .size:           8
        .value_kind:     global_buffer
      - .actual_access:  read_only
        .address_space:  global
        .offset:         40
        .size:           8
        .value_kind:     global_buffer
      - .actual_access:  read_only
        .address_space:  global
        .offset:         48
        .size:           8
        .value_kind:     global_buffer
      - .actual_access:  read_only
        .address_space:  global
        .offset:         56
        .size:           8
        .value_kind:     global_buffer
      - .actual_access:  read_only
        .address_space:  global
        .offset:         64
        .size:           8
        .value_kind:     global_buffer
      - .actual_access:  read_only
        .address_space:  global
        .offset:         72
        .size:           8
        .value_kind:     global_buffer
      - .actual_access:  write_only
        .address_space:  global
        .offset:         80
        .size:           8
        .value_kind:     global_buffer
      - .offset:         88
        .size:           4
        .value_kind:     by_value
      - .offset:         92
        .size:           4
        .value_kind:     by_value
      - .offset:         96
        .size:           4
        .value_kind:     by_value
      - .offset:         100
        .size:           4
        .value_kind:     by_value
      - .offset:         104
        .size:           1
        .value_kind:     by_value
      - .offset:         105
        .size:           1
        .value_kind:     by_value
    .group_segment_fixed_size: 0
    .kernarg_segment_align: 8
    .kernarg_segment_size: 108
    .language:       OpenCL C
    .language_version:
      - 2
      - 0
    .max_flat_workgroup_size: 256
    .name:           _ZN9rocsparseL35csrgemm_symbolic_fill_block_per_rowILj256ELj32ELj512ELj137ELj32EliEEvT5_PKS1_S3_PKT4_S3_S6_S3_S6_S3_S6_PS1_21rocsparse_index_base_S8_S8_S8_bb
    .private_segment_fixed_size: 0
    .sgpr_count:     37
    .sgpr_spill_count: 0
    .symbol:         _ZN9rocsparseL35csrgemm_symbolic_fill_block_per_rowILj256ELj32ELj512ELj137ELj32EliEEvT5_PKS1_S3_PKT4_S3_S6_S3_S6_S3_S6_PS1_21rocsparse_index_base_S8_S8_S8_bb.kd
    .uniform_work_group_size: 1
    .uses_dynamic_stack: false
    .vgpr_count:     16
    .vgpr_spill_count: 0
    .wavefront_size: 32
    .workgroup_processor_mode: 1
  - .args:
      - .offset:         0
        .size:           4
        .value_kind:     by_value
      - .actual_access:  read_only
        .address_space:  global
        .offset:         8
        .size:           8
        .value_kind:     global_buffer
      - .actual_access:  read_only
        .address_space:  global
        .offset:         16
        .size:           8
        .value_kind:     global_buffer
      - .actual_access:  read_only
        .address_space:  global
        .offset:         24
        .size:           8
        .value_kind:     global_buffer
      - .actual_access:  read_only
        .address_space:  global
        .offset:         32
        .size:           8
        .value_kind:     global_buffer
      - .actual_access:  read_only
        .address_space:  global
        .offset:         40
        .size:           8
        .value_kind:     global_buffer
      - .actual_access:  read_only
        .address_space:  global
        .offset:         48
        .size:           8
        .value_kind:     global_buffer
      - .actual_access:  read_only
        .address_space:  global
        .offset:         56
        .size:           8
        .value_kind:     global_buffer
      - .actual_access:  read_only
        .address_space:  global
        .offset:         64
        .size:           8
        .value_kind:     global_buffer
      - .actual_access:  read_only
        .address_space:  global
        .offset:         72
        .size:           8
        .value_kind:     global_buffer
      - .actual_access:  write_only
        .address_space:  global
        .offset:         80
        .size:           8
        .value_kind:     global_buffer
      - .offset:         88
        .size:           4
        .value_kind:     by_value
      - .offset:         92
        .size:           4
        .value_kind:     by_value
      - .offset:         96
        .size:           4
        .value_kind:     by_value
      - .offset:         100
        .size:           4
        .value_kind:     by_value
      - .offset:         104
        .size:           1
        .value_kind:     by_value
      - .offset:         105
        .size:           1
        .value_kind:     by_value
    .group_segment_fixed_size: 0
    .kernarg_segment_align: 8
    .kernarg_segment_size: 108
    .language:       OpenCL C
    .language_version:
      - 2
      - 0
    .max_flat_workgroup_size: 256
    .name:           _ZN9rocsparseL35csrgemm_symbolic_fill_block_per_rowILj256ELj32ELj512ELj137ELj64EliEEvT5_PKS1_S3_PKT4_S3_S6_S3_S6_S3_S6_PS1_21rocsparse_index_base_S8_S8_S8_bb
    .private_segment_fixed_size: 0
    .sgpr_count:     42
    .sgpr_spill_count: 0
    .symbol:         _ZN9rocsparseL35csrgemm_symbolic_fill_block_per_rowILj256ELj32ELj512ELj137ELj64EliEEvT5_PKS1_S3_PKT4_S3_S6_S3_S6_S3_S6_PS1_21rocsparse_index_base_S8_S8_S8_bb.kd
    .uniform_work_group_size: 1
    .uses_dynamic_stack: false
    .vgpr_count:     15
    .vgpr_spill_count: 0
    .wavefront_size: 32
    .workgroup_processor_mode: 1
  - .args:
      - .offset:         0
        .size:           4
        .value_kind:     by_value
      - .actual_access:  read_only
        .address_space:  global
        .offset:         8
        .size:           8
        .value_kind:     global_buffer
      - .actual_access:  read_only
        .address_space:  global
        .offset:         16
        .size:           8
        .value_kind:     global_buffer
      - .actual_access:  read_only
        .address_space:  global
        .offset:         24
        .size:           8
        .value_kind:     global_buffer
      - .actual_access:  read_only
        .address_space:  global
        .offset:         32
        .size:           8
        .value_kind:     global_buffer
      - .actual_access:  read_only
        .address_space:  global
        .offset:         40
        .size:           8
        .value_kind:     global_buffer
      - .actual_access:  read_only
        .address_space:  global
        .offset:         48
        .size:           8
        .value_kind:     global_buffer
      - .actual_access:  read_only
        .address_space:  global
        .offset:         56
        .size:           8
        .value_kind:     global_buffer
      - .actual_access:  read_only
        .address_space:  global
        .offset:         64
        .size:           8
        .value_kind:     global_buffer
      - .actual_access:  read_only
        .address_space:  global
        .offset:         72
        .size:           8
        .value_kind:     global_buffer
      - .actual_access:  write_only
        .address_space:  global
        .offset:         80
        .size:           8
        .value_kind:     global_buffer
      - .offset:         88
        .size:           4
        .value_kind:     by_value
      - .offset:         92
        .size:           4
        .value_kind:     by_value
      - .offset:         96
        .size:           4
        .value_kind:     by_value
      - .offset:         100
        .size:           4
        .value_kind:     by_value
      - .offset:         104
        .size:           1
        .value_kind:     by_value
      - .offset:         105
        .size:           1
        .value_kind:     by_value
    .group_segment_fixed_size: 0
    .kernarg_segment_align: 8
    .kernarg_segment_size: 108
    .language:       OpenCL C
    .language_version:
      - 2
      - 0
    .max_flat_workgroup_size: 512
    .name:           _ZN9rocsparseL35csrgemm_symbolic_fill_block_per_rowILj512ELj32ELj1024ELj137ELj32EliEEvT5_PKS1_S3_PKT4_S3_S6_S3_S6_S3_S6_PS1_21rocsparse_index_base_S8_S8_S8_bb
    .private_segment_fixed_size: 0
    .sgpr_count:     36
    .sgpr_spill_count: 0
    .symbol:         _ZN9rocsparseL35csrgemm_symbolic_fill_block_per_rowILj512ELj32ELj1024ELj137ELj32EliEEvT5_PKS1_S3_PKT4_S3_S6_S3_S6_S3_S6_PS1_21rocsparse_index_base_S8_S8_S8_bb.kd
    .uniform_work_group_size: 1
    .uses_dynamic_stack: false
    .vgpr_count:     16
    .vgpr_spill_count: 0
    .wavefront_size: 32
    .workgroup_processor_mode: 1
  - .args:
      - .offset:         0
        .size:           4
        .value_kind:     by_value
      - .actual_access:  read_only
        .address_space:  global
        .offset:         8
        .size:           8
        .value_kind:     global_buffer
      - .actual_access:  read_only
        .address_space:  global
        .offset:         16
        .size:           8
        .value_kind:     global_buffer
      - .actual_access:  read_only
        .address_space:  global
        .offset:         24
        .size:           8
        .value_kind:     global_buffer
      - .actual_access:  read_only
        .address_space:  global
        .offset:         32
        .size:           8
        .value_kind:     global_buffer
      - .actual_access:  read_only
        .address_space:  global
        .offset:         40
        .size:           8
        .value_kind:     global_buffer
      - .actual_access:  read_only
        .address_space:  global
        .offset:         48
        .size:           8
        .value_kind:     global_buffer
      - .actual_access:  read_only
        .address_space:  global
        .offset:         56
        .size:           8
        .value_kind:     global_buffer
      - .actual_access:  read_only
        .address_space:  global
        .offset:         64
        .size:           8
        .value_kind:     global_buffer
      - .actual_access:  read_only
        .address_space:  global
        .offset:         72
        .size:           8
        .value_kind:     global_buffer
      - .actual_access:  write_only
        .address_space:  global
        .offset:         80
        .size:           8
        .value_kind:     global_buffer
      - .offset:         88
        .size:           4
        .value_kind:     by_value
      - .offset:         92
        .size:           4
        .value_kind:     by_value
      - .offset:         96
        .size:           4
        .value_kind:     by_value
      - .offset:         100
        .size:           4
        .value_kind:     by_value
      - .offset:         104
        .size:           1
        .value_kind:     by_value
      - .offset:         105
        .size:           1
        .value_kind:     by_value
    .group_segment_fixed_size: 0
    .kernarg_segment_align: 8
    .kernarg_segment_size: 108
    .language:       OpenCL C
    .language_version:
      - 2
      - 0
    .max_flat_workgroup_size: 512
    .name:           _ZN9rocsparseL35csrgemm_symbolic_fill_block_per_rowILj512ELj32ELj1024ELj137ELj64EliEEvT5_PKS1_S3_PKT4_S3_S6_S3_S6_S3_S6_PS1_21rocsparse_index_base_S8_S8_S8_bb
    .private_segment_fixed_size: 0
    .sgpr_count:     36
    .sgpr_spill_count: 0
    .symbol:         _ZN9rocsparseL35csrgemm_symbolic_fill_block_per_rowILj512ELj32ELj1024ELj137ELj64EliEEvT5_PKS1_S3_PKT4_S3_S6_S3_S6_S3_S6_PS1_21rocsparse_index_base_S8_S8_S8_bb.kd
    .uniform_work_group_size: 1
    .uses_dynamic_stack: false
    .vgpr_count:     15
    .vgpr_spill_count: 0
    .wavefront_size: 32
    .workgroup_processor_mode: 1
  - .args:
      - .offset:         0
        .size:           4
        .value_kind:     by_value
      - .actual_access:  read_only
        .address_space:  global
        .offset:         8
        .size:           8
        .value_kind:     global_buffer
      - .actual_access:  read_only
        .address_space:  global
        .offset:         16
        .size:           8
        .value_kind:     global_buffer
      - .actual_access:  read_only
        .address_space:  global
        .offset:         24
        .size:           8
        .value_kind:     global_buffer
      - .actual_access:  read_only
        .address_space:  global
        .offset:         32
        .size:           8
        .value_kind:     global_buffer
      - .actual_access:  read_only
        .address_space:  global
        .offset:         40
        .size:           8
        .value_kind:     global_buffer
      - .actual_access:  read_only
        .address_space:  global
        .offset:         48
        .size:           8
        .value_kind:     global_buffer
      - .actual_access:  read_only
        .address_space:  global
        .offset:         56
        .size:           8
        .value_kind:     global_buffer
      - .actual_access:  read_only
        .address_space:  global
        .offset:         64
        .size:           8
        .value_kind:     global_buffer
      - .actual_access:  read_only
        .address_space:  global
        .offset:         72
        .size:           8
        .value_kind:     global_buffer
      - .actual_access:  write_only
        .address_space:  global
        .offset:         80
        .size:           8
        .value_kind:     global_buffer
      - .offset:         88
        .size:           4
        .value_kind:     by_value
      - .offset:         92
        .size:           4
        .value_kind:     by_value
      - .offset:         96
        .size:           4
        .value_kind:     by_value
      - .offset:         100
        .size:           4
        .value_kind:     by_value
      - .offset:         104
        .size:           1
        .value_kind:     by_value
      - .offset:         105
        .size:           1
        .value_kind:     by_value
    .group_segment_fixed_size: 0
    .kernarg_segment_align: 8
    .kernarg_segment_size: 108
    .language:       OpenCL C
    .language_version:
      - 2
      - 0
    .max_flat_workgroup_size: 1024
    .name:           _ZN9rocsparseL35csrgemm_symbolic_fill_block_per_rowILj1024ELj32ELj2048ELj137ELj32EliEEvT5_PKS1_S3_PKT4_S3_S6_S3_S6_S3_S6_PS1_21rocsparse_index_base_S8_S8_S8_bb
    .private_segment_fixed_size: 0
    .sgpr_count:     46
    .sgpr_spill_count: 0
    .symbol:         _ZN9rocsparseL35csrgemm_symbolic_fill_block_per_rowILj1024ELj32ELj2048ELj137ELj32EliEEvT5_PKS1_S3_PKT4_S3_S6_S3_S6_S3_S6_PS1_21rocsparse_index_base_S8_S8_S8_bb.kd
    .uniform_work_group_size: 1
    .uses_dynamic_stack: false
    .vgpr_count:     16
    .vgpr_spill_count: 0
    .wavefront_size: 32
    .workgroup_processor_mode: 1
  - .args:
      - .offset:         0
        .size:           4
        .value_kind:     by_value
      - .actual_access:  read_only
        .address_space:  global
        .offset:         8
        .size:           8
        .value_kind:     global_buffer
      - .actual_access:  read_only
        .address_space:  global
        .offset:         16
        .size:           8
        .value_kind:     global_buffer
      - .actual_access:  read_only
        .address_space:  global
        .offset:         24
        .size:           8
        .value_kind:     global_buffer
      - .actual_access:  read_only
        .address_space:  global
        .offset:         32
        .size:           8
        .value_kind:     global_buffer
      - .actual_access:  read_only
        .address_space:  global
        .offset:         40
        .size:           8
        .value_kind:     global_buffer
      - .actual_access:  read_only
        .address_space:  global
        .offset:         48
        .size:           8
        .value_kind:     global_buffer
      - .actual_access:  read_only
        .address_space:  global
        .offset:         56
        .size:           8
        .value_kind:     global_buffer
      - .actual_access:  read_only
        .address_space:  global
        .offset:         64
        .size:           8
        .value_kind:     global_buffer
      - .actual_access:  read_only
        .address_space:  global
        .offset:         72
        .size:           8
        .value_kind:     global_buffer
      - .actual_access:  write_only
        .address_space:  global
        .offset:         80
        .size:           8
        .value_kind:     global_buffer
      - .offset:         88
        .size:           4
        .value_kind:     by_value
      - .offset:         92
        .size:           4
        .value_kind:     by_value
      - .offset:         96
        .size:           4
        .value_kind:     by_value
      - .offset:         100
        .size:           4
        .value_kind:     by_value
      - .offset:         104
        .size:           1
        .value_kind:     by_value
      - .offset:         105
        .size:           1
        .value_kind:     by_value
    .group_segment_fixed_size: 0
    .kernarg_segment_align: 8
    .kernarg_segment_size: 108
    .language:       OpenCL C
    .language_version:
      - 2
      - 0
    .max_flat_workgroup_size: 1024
    .name:           _ZN9rocsparseL35csrgemm_symbolic_fill_block_per_rowILj1024ELj32ELj2048ELj137ELj64EliEEvT5_PKS1_S3_PKT4_S3_S6_S3_S6_S3_S6_PS1_21rocsparse_index_base_S8_S8_S8_bb
    .private_segment_fixed_size: 0
    .sgpr_count:     36
    .sgpr_spill_count: 0
    .symbol:         _ZN9rocsparseL35csrgemm_symbolic_fill_block_per_rowILj1024ELj32ELj2048ELj137ELj64EliEEvT5_PKS1_S3_PKT4_S3_S6_S3_S6_S3_S6_PS1_21rocsparse_index_base_S8_S8_S8_bb.kd
    .uniform_work_group_size: 1
    .uses_dynamic_stack: false
    .vgpr_count:     15
    .vgpr_spill_count: 0
    .wavefront_size: 32
    .workgroup_processor_mode: 1
  - .args:
      - .offset:         0
        .size:           4
        .value_kind:     by_value
      - .actual_access:  read_only
        .address_space:  global
        .offset:         8
        .size:           8
        .value_kind:     global_buffer
      - .actual_access:  read_only
        .address_space:  global
        .offset:         16
        .size:           8
        .value_kind:     global_buffer
      - .actual_access:  read_only
        .address_space:  global
        .offset:         24
        .size:           8
        .value_kind:     global_buffer
      - .actual_access:  read_only
        .address_space:  global
        .offset:         32
        .size:           8
        .value_kind:     global_buffer
      - .actual_access:  read_only
        .address_space:  global
        .offset:         40
        .size:           8
        .value_kind:     global_buffer
      - .actual_access:  read_only
        .address_space:  global
        .offset:         48
        .size:           8
        .value_kind:     global_buffer
      - .actual_access:  read_only
        .address_space:  global
        .offset:         56
        .size:           8
        .value_kind:     global_buffer
      - .actual_access:  read_only
        .address_space:  global
        .offset:         64
        .size:           8
        .value_kind:     global_buffer
      - .actual_access:  read_only
        .address_space:  global
        .offset:         72
        .size:           8
        .value_kind:     global_buffer
      - .actual_access:  write_only
        .address_space:  global
        .offset:         80
        .size:           8
        .value_kind:     global_buffer
      - .offset:         88
        .size:           4
        .value_kind:     by_value
      - .offset:         92
        .size:           4
        .value_kind:     by_value
      - .offset:         96
        .size:           4
        .value_kind:     by_value
      - .offset:         100
        .size:           4
        .value_kind:     by_value
      - .offset:         104
        .size:           1
        .value_kind:     by_value
      - .offset:         105
        .size:           1
        .value_kind:     by_value
    .group_segment_fixed_size: 0
    .kernarg_segment_align: 8
    .kernarg_segment_size: 108
    .language:       OpenCL C
    .language_version:
      - 2
      - 0
    .max_flat_workgroup_size: 1024
    .name:           _ZN9rocsparseL35csrgemm_symbolic_fill_block_per_rowILj1024ELj64ELj4096ELj137ELj32EliEEvT5_PKS1_S3_PKT4_S3_S6_S3_S6_S3_S6_PS1_21rocsparse_index_base_S8_S8_S8_bb
    .private_segment_fixed_size: 0
    .sgpr_count:     46
    .sgpr_spill_count: 0
    .symbol:         _ZN9rocsparseL35csrgemm_symbolic_fill_block_per_rowILj1024ELj64ELj4096ELj137ELj32EliEEvT5_PKS1_S3_PKT4_S3_S6_S3_S6_S3_S6_PS1_21rocsparse_index_base_S8_S8_S8_bb.kd
    .uniform_work_group_size: 1
    .uses_dynamic_stack: false
    .vgpr_count:     15
    .vgpr_spill_count: 0
    .wavefront_size: 32
    .workgroup_processor_mode: 1
  - .args:
      - .offset:         0
        .size:           4
        .value_kind:     by_value
      - .actual_access:  read_only
        .address_space:  global
        .offset:         8
        .size:           8
        .value_kind:     global_buffer
      - .actual_access:  read_only
        .address_space:  global
        .offset:         16
        .size:           8
        .value_kind:     global_buffer
      - .actual_access:  read_only
        .address_space:  global
        .offset:         24
        .size:           8
        .value_kind:     global_buffer
      - .actual_access:  read_only
        .address_space:  global
        .offset:         32
        .size:           8
        .value_kind:     global_buffer
      - .actual_access:  read_only
        .address_space:  global
        .offset:         40
        .size:           8
        .value_kind:     global_buffer
      - .actual_access:  read_only
        .address_space:  global
        .offset:         48
        .size:           8
        .value_kind:     global_buffer
      - .actual_access:  read_only
        .address_space:  global
        .offset:         56
        .size:           8
        .value_kind:     global_buffer
      - .actual_access:  read_only
        .address_space:  global
        .offset:         64
        .size:           8
        .value_kind:     global_buffer
      - .actual_access:  read_only
        .address_space:  global
        .offset:         72
        .size:           8
        .value_kind:     global_buffer
      - .actual_access:  write_only
        .address_space:  global
        .offset:         80
        .size:           8
        .value_kind:     global_buffer
      - .offset:         88
        .size:           4
        .value_kind:     by_value
      - .offset:         92
        .size:           4
        .value_kind:     by_value
      - .offset:         96
        .size:           4
        .value_kind:     by_value
      - .offset:         100
        .size:           4
        .value_kind:     by_value
      - .offset:         104
        .size:           1
        .value_kind:     by_value
      - .offset:         105
        .size:           1
        .value_kind:     by_value
    .group_segment_fixed_size: 0
    .kernarg_segment_align: 8
    .kernarg_segment_size: 108
    .language:       OpenCL C
    .language_version:
      - 2
      - 0
    .max_flat_workgroup_size: 1024
    .name:           _ZN9rocsparseL35csrgemm_symbolic_fill_block_per_rowILj1024ELj64ELj4096ELj137ELj64EliEEvT5_PKS1_S3_PKT4_S3_S6_S3_S6_S3_S6_PS1_21rocsparse_index_base_S8_S8_S8_bb
    .private_segment_fixed_size: 0
    .sgpr_count:     36
    .sgpr_spill_count: 0
    .symbol:         _ZN9rocsparseL35csrgemm_symbolic_fill_block_per_rowILj1024ELj64ELj4096ELj137ELj64EliEEvT5_PKS1_S3_PKT4_S3_S6_S3_S6_S3_S6_PS1_21rocsparse_index_base_S8_S8_S8_bb.kd
    .uniform_work_group_size: 1
    .uses_dynamic_stack: false
    .vgpr_count:     16
    .vgpr_spill_count: 0
    .wavefront_size: 32
    .workgroup_processor_mode: 1
  - .args:
      - .offset:         0
        .size:           4
        .value_kind:     by_value
      - .actual_access:  read_only
        .address_space:  global
        .offset:         8
        .size:           8
        .value_kind:     global_buffer
      - .actual_access:  read_only
        .address_space:  global
        .offset:         16
        .size:           8
        .value_kind:     global_buffer
      - .actual_access:  read_only
        .address_space:  global
        .offset:         24
        .size:           8
        .value_kind:     global_buffer
      - .actual_access:  read_only
        .address_space:  global
        .offset:         32
        .size:           8
        .value_kind:     global_buffer
      - .actual_access:  read_only
        .address_space:  global
        .offset:         40
        .size:           8
        .value_kind:     global_buffer
      - .actual_access:  read_only
        .address_space:  global
        .offset:         48
        .size:           8
        .value_kind:     global_buffer
      - .actual_access:  read_only
        .address_space:  global
        .offset:         56
        .size:           8
        .value_kind:     global_buffer
      - .actual_access:  read_only
        .address_space:  global
        .offset:         64
        .size:           8
        .value_kind:     global_buffer
      - .actual_access:  read_only
        .address_space:  global
        .offset:         72
        .size:           8
        .value_kind:     global_buffer
      - .actual_access:  write_only
        .address_space:  global
        .offset:         80
        .size:           8
        .value_kind:     global_buffer
      - .offset:         88
        .size:           4
        .value_kind:     by_value
      - .offset:         92
        .size:           4
        .value_kind:     by_value
      - .offset:         96
        .size:           4
        .value_kind:     by_value
      - .offset:         100
        .size:           4
        .value_kind:     by_value
      - .offset:         104
        .size:           1
        .value_kind:     by_value
      - .offset:         105
        .size:           1
        .value_kind:     by_value
    .group_segment_fixed_size: 0
    .kernarg_segment_align: 8
    .kernarg_segment_size: 108
    .language:       OpenCL C
    .language_version:
      - 2
      - 0
    .max_flat_workgroup_size: 1024
    .name:           _ZN9rocsparseL35csrgemm_symbolic_fill_block_per_rowILj1024ELj64ELj8192ELj137ELj32EliEEvT5_PKS1_S3_PKT4_S3_S6_S3_S6_S3_S6_PS1_21rocsparse_index_base_S8_S8_S8_bb
    .private_segment_fixed_size: 0
    .sgpr_count:     46
    .sgpr_spill_count: 0
    .symbol:         _ZN9rocsparseL35csrgemm_symbolic_fill_block_per_rowILj1024ELj64ELj8192ELj137ELj32EliEEvT5_PKS1_S3_PKT4_S3_S6_S3_S6_S3_S6_PS1_21rocsparse_index_base_S8_S8_S8_bb.kd
    .uniform_work_group_size: 1
    .uses_dynamic_stack: false
    .vgpr_count:     14
    .vgpr_spill_count: 0
    .wavefront_size: 32
    .workgroup_processor_mode: 1
  - .args:
      - .offset:         0
        .size:           4
        .value_kind:     by_value
      - .actual_access:  read_only
        .address_space:  global
        .offset:         8
        .size:           8
        .value_kind:     global_buffer
      - .actual_access:  read_only
        .address_space:  global
        .offset:         16
        .size:           8
        .value_kind:     global_buffer
      - .actual_access:  read_only
        .address_space:  global
        .offset:         24
        .size:           8
        .value_kind:     global_buffer
      - .actual_access:  read_only
        .address_space:  global
        .offset:         32
        .size:           8
        .value_kind:     global_buffer
      - .actual_access:  read_only
        .address_space:  global
        .offset:         40
        .size:           8
        .value_kind:     global_buffer
      - .actual_access:  read_only
        .address_space:  global
        .offset:         48
        .size:           8
        .value_kind:     global_buffer
      - .actual_access:  read_only
        .address_space:  global
        .offset:         56
        .size:           8
        .value_kind:     global_buffer
      - .actual_access:  read_only
        .address_space:  global
        .offset:         64
        .size:           8
        .value_kind:     global_buffer
      - .actual_access:  read_only
        .address_space:  global
        .offset:         72
        .size:           8
        .value_kind:     global_buffer
      - .actual_access:  write_only
        .address_space:  global
        .offset:         80
        .size:           8
        .value_kind:     global_buffer
      - .offset:         88
        .size:           4
        .value_kind:     by_value
      - .offset:         92
        .size:           4
        .value_kind:     by_value
      - .offset:         96
        .size:           4
        .value_kind:     by_value
      - .offset:         100
        .size:           4
        .value_kind:     by_value
      - .offset:         104
        .size:           1
        .value_kind:     by_value
      - .offset:         105
        .size:           1
        .value_kind:     by_value
    .group_segment_fixed_size: 0
    .kernarg_segment_align: 8
    .kernarg_segment_size: 108
    .language:       OpenCL C
    .language_version:
      - 2
      - 0
    .max_flat_workgroup_size: 1024
    .name:           _ZN9rocsparseL35csrgemm_symbolic_fill_block_per_rowILj1024ELj64ELj8192ELj137ELj64EliEEvT5_PKS1_S3_PKT4_S3_S6_S3_S6_S3_S6_PS1_21rocsparse_index_base_S8_S8_S8_bb
    .private_segment_fixed_size: 0
    .sgpr_count:     29
    .sgpr_spill_count: 0
    .symbol:         _ZN9rocsparseL35csrgemm_symbolic_fill_block_per_rowILj1024ELj64ELj8192ELj137ELj64EliEEvT5_PKS1_S3_PKT4_S3_S6_S3_S6_S3_S6_PS1_21rocsparse_index_base_S8_S8_S8_bb.kd
    .uniform_work_group_size: 1
    .uses_dynamic_stack: false
    .vgpr_count:     15
    .vgpr_spill_count: 0
    .wavefront_size: 32
    .workgroup_processor_mode: 1
  - .args:
      - .offset:         0
        .size:           4
        .value_kind:     by_value
      - .actual_access:  read_only
        .address_space:  global
        .offset:         8
        .size:           8
        .value_kind:     global_buffer
      - .actual_access:  read_only
        .address_space:  global
        .offset:         16
        .size:           8
        .value_kind:     global_buffer
      - .actual_access:  read_only
        .address_space:  global
        .offset:         24
        .size:           8
        .value_kind:     global_buffer
      - .actual_access:  read_only
        .address_space:  global
        .offset:         32
        .size:           8
        .value_kind:     global_buffer
      - .actual_access:  read_only
        .address_space:  global
        .offset:         40
        .size:           8
        .value_kind:     global_buffer
      - .actual_access:  read_only
        .address_space:  global
        .offset:         48
        .size:           8
        .value_kind:     global_buffer
      - .actual_access:  read_only
        .address_space:  global
        .offset:         56
        .size:           8
        .value_kind:     global_buffer
      - .actual_access:  read_only
        .address_space:  global
        .offset:         64
        .size:           8
        .value_kind:     global_buffer
      - .actual_access:  read_only
        .address_space:  global
        .offset:         72
        .size:           8
        .value_kind:     global_buffer
      - .actual_access:  write_only
        .address_space:  global
        .offset:         80
        .size:           8
        .value_kind:     global_buffer
      - .offset:         88
        .size:           4
        .value_kind:     by_value
      - .offset:         92
        .size:           4
        .value_kind:     by_value
      - .offset:         96
        .size:           4
        .value_kind:     by_value
      - .offset:         100
        .size:           4
        .value_kind:     by_value
      - .offset:         104
        .size:           1
        .value_kind:     by_value
      - .offset:         105
        .size:           1
        .value_kind:     by_value
    .group_segment_fixed_size: 0
    .kernarg_segment_align: 8
    .kernarg_segment_size: 108
    .language:       OpenCL C
    .language_version:
      - 2
      - 0
    .max_flat_workgroup_size: 1024
    .name:           _ZN9rocsparseL35csrgemm_symbolic_fill_block_per_rowILj1024ELj64ELj16384ELj137ELj32EliEEvT5_PKS1_S3_PKT4_S3_S6_S3_S6_S3_S6_PS1_21rocsparse_index_base_S8_S8_S8_bb
    .private_segment_fixed_size: 0
    .sgpr_count:     76
    .sgpr_spill_count: 0
    .symbol:         _ZN9rocsparseL35csrgemm_symbolic_fill_block_per_rowILj1024ELj64ELj16384ELj137ELj32EliEEvT5_PKS1_S3_PKT4_S3_S6_S3_S6_S3_S6_PS1_21rocsparse_index_base_S8_S8_S8_bb.kd
    .uniform_work_group_size: 1
    .uses_dynamic_stack: false
    .vgpr_count:     15
    .vgpr_spill_count: 0
    .wavefront_size: 32
    .workgroup_processor_mode: 1
  - .args:
      - .offset:         0
        .size:           4
        .value_kind:     by_value
      - .actual_access:  read_only
        .address_space:  global
        .offset:         8
        .size:           8
        .value_kind:     global_buffer
      - .actual_access:  read_only
        .address_space:  global
        .offset:         16
        .size:           8
        .value_kind:     global_buffer
      - .actual_access:  read_only
        .address_space:  global
        .offset:         24
        .size:           8
        .value_kind:     global_buffer
      - .actual_access:  read_only
        .address_space:  global
        .offset:         32
        .size:           8
        .value_kind:     global_buffer
      - .actual_access:  read_only
        .address_space:  global
        .offset:         40
        .size:           8
        .value_kind:     global_buffer
      - .actual_access:  read_only
        .address_space:  global
        .offset:         48
        .size:           8
        .value_kind:     global_buffer
      - .actual_access:  read_only
        .address_space:  global
        .offset:         56
        .size:           8
        .value_kind:     global_buffer
      - .actual_access:  read_only
        .address_space:  global
        .offset:         64
        .size:           8
        .value_kind:     global_buffer
      - .actual_access:  read_only
        .address_space:  global
        .offset:         72
        .size:           8
        .value_kind:     global_buffer
      - .actual_access:  write_only
        .address_space:  global
        .offset:         80
        .size:           8
        .value_kind:     global_buffer
      - .offset:         88
        .size:           4
        .value_kind:     by_value
      - .offset:         92
        .size:           4
        .value_kind:     by_value
      - .offset:         96
        .size:           4
        .value_kind:     by_value
      - .offset:         100
        .size:           4
        .value_kind:     by_value
      - .offset:         104
        .size:           1
        .value_kind:     by_value
      - .offset:         105
        .size:           1
        .value_kind:     by_value
    .group_segment_fixed_size: 0
    .kernarg_segment_align: 8
    .kernarg_segment_size: 108
    .language:       OpenCL C
    .language_version:
      - 2
      - 0
    .max_flat_workgroup_size: 1024
    .name:           _ZN9rocsparseL35csrgemm_symbolic_fill_block_per_rowILj1024ELj64ELj16384ELj137ELj64EliEEvT5_PKS1_S3_PKT4_S3_S6_S3_S6_S3_S6_PS1_21rocsparse_index_base_S8_S8_S8_bb
    .private_segment_fixed_size: 0
    .sgpr_count:     44
    .sgpr_spill_count: 0
    .symbol:         _ZN9rocsparseL35csrgemm_symbolic_fill_block_per_rowILj1024ELj64ELj16384ELj137ELj64EliEEvT5_PKS1_S3_PKT4_S3_S6_S3_S6_S3_S6_PS1_21rocsparse_index_base_S8_S8_S8_bb.kd
    .uniform_work_group_size: 1
    .uses_dynamic_stack: false
    .vgpr_count:     16
    .vgpr_spill_count: 0
    .wavefront_size: 32
    .workgroup_processor_mode: 1
  - .args:
      - .offset:         0
        .size:           4
        .value_kind:     by_value
      - .actual_access:  read_only
        .address_space:  global
        .offset:         8
        .size:           8
        .value_kind:     global_buffer
      - .actual_access:  read_only
        .address_space:  global
        .offset:         16
        .size:           8
        .value_kind:     global_buffer
      - .actual_access:  read_only
        .address_space:  global
        .offset:         24
        .size:           8
        .value_kind:     global_buffer
      - .actual_access:  read_only
        .address_space:  global
        .offset:         32
        .size:           8
        .value_kind:     global_buffer
      - .actual_access:  read_only
        .address_space:  global
        .offset:         40
        .size:           8
        .value_kind:     global_buffer
      - .actual_access:  read_only
        .address_space:  global
        .offset:         48
        .size:           8
        .value_kind:     global_buffer
      - .actual_access:  read_only
        .address_space:  global
        .offset:         56
        .size:           8
        .value_kind:     global_buffer
      - .actual_access:  read_only
        .address_space:  global
        .offset:         64
        .size:           8
        .value_kind:     global_buffer
      - .actual_access:  read_only
        .address_space:  global
        .offset:         72
        .size:           8
        .value_kind:     global_buffer
      - .actual_access:  write_only
        .address_space:  global
        .offset:         80
        .size:           8
        .value_kind:     global_buffer
      - .offset:         88
        .size:           4
        .value_kind:     by_value
      - .offset:         92
        .size:           4
        .value_kind:     by_value
      - .offset:         96
        .size:           4
        .value_kind:     by_value
      - .offset:         100
        .size:           4
        .value_kind:     by_value
      - .offset:         104
        .size:           1
        .value_kind:     by_value
      - .offset:         105
        .size:           1
        .value_kind:     by_value
    .group_segment_fixed_size: 0
    .kernarg_segment_align: 8
    .kernarg_segment_size: 108
    .language:       OpenCL C
    .language_version:
      - 2
      - 0
    .max_flat_workgroup_size: 1024
    .name:           _ZN9rocsparseL35csrgemm_symbolic_fill_block_per_rowILj1024ELj64ELj32768ELj137ELj32EliEEvT5_PKS1_S3_PKT4_S3_S6_S3_S6_S3_S6_PS1_21rocsparse_index_base_S8_S8_S8_bb
    .private_segment_fixed_size: 0
    .sgpr_count:     76
    .sgpr_spill_count: 0
    .symbol:         _ZN9rocsparseL35csrgemm_symbolic_fill_block_per_rowILj1024ELj64ELj32768ELj137ELj32EliEEvT5_PKS1_S3_PKT4_S3_S6_S3_S6_S3_S6_PS1_21rocsparse_index_base_S8_S8_S8_bb.kd
    .uniform_work_group_size: 1
    .uses_dynamic_stack: false
    .vgpr_count:     15
    .vgpr_spill_count: 0
    .wavefront_size: 32
    .workgroup_processor_mode: 1
  - .args:
      - .offset:         0
        .size:           4
        .value_kind:     by_value
      - .actual_access:  read_only
        .address_space:  global
        .offset:         8
        .size:           8
        .value_kind:     global_buffer
      - .actual_access:  read_only
        .address_space:  global
        .offset:         16
        .size:           8
        .value_kind:     global_buffer
      - .actual_access:  read_only
        .address_space:  global
        .offset:         24
        .size:           8
        .value_kind:     global_buffer
      - .actual_access:  read_only
        .address_space:  global
        .offset:         32
        .size:           8
        .value_kind:     global_buffer
      - .actual_access:  read_only
        .address_space:  global
        .offset:         40
        .size:           8
        .value_kind:     global_buffer
      - .actual_access:  read_only
        .address_space:  global
        .offset:         48
        .size:           8
        .value_kind:     global_buffer
      - .actual_access:  read_only
        .address_space:  global
        .offset:         56
        .size:           8
        .value_kind:     global_buffer
      - .actual_access:  read_only
        .address_space:  global
        .offset:         64
        .size:           8
        .value_kind:     global_buffer
      - .actual_access:  read_only
        .address_space:  global
        .offset:         72
        .size:           8
        .value_kind:     global_buffer
      - .actual_access:  write_only
        .address_space:  global
        .offset:         80
        .size:           8
        .value_kind:     global_buffer
      - .offset:         88
        .size:           4
        .value_kind:     by_value
      - .offset:         92
        .size:           4
        .value_kind:     by_value
      - .offset:         96
        .size:           4
        .value_kind:     by_value
      - .offset:         100
        .size:           4
        .value_kind:     by_value
      - .offset:         104
        .size:           1
        .value_kind:     by_value
      - .offset:         105
        .size:           1
        .value_kind:     by_value
    .group_segment_fixed_size: 0
    .kernarg_segment_align: 8
    .kernarg_segment_size: 108
    .language:       OpenCL C
    .language_version:
      - 2
      - 0
    .max_flat_workgroup_size: 1024
    .name:           _ZN9rocsparseL35csrgemm_symbolic_fill_block_per_rowILj1024ELj64ELj32768ELj137ELj64EliEEvT5_PKS1_S3_PKT4_S3_S6_S3_S6_S3_S6_PS1_21rocsparse_index_base_S8_S8_S8_bb
    .private_segment_fixed_size: 0
    .sgpr_count:     44
    .sgpr_spill_count: 0
    .symbol:         _ZN9rocsparseL35csrgemm_symbolic_fill_block_per_rowILj1024ELj64ELj32768ELj137ELj64EliEEvT5_PKS1_S3_PKT4_S3_S6_S3_S6_S3_S6_PS1_21rocsparse_index_base_S8_S8_S8_bb.kd
    .uniform_work_group_size: 1
    .uses_dynamic_stack: false
    .vgpr_count:     16
    .vgpr_spill_count: 0
    .wavefront_size: 32
    .workgroup_processor_mode: 1
  - .args:
      - .offset:         0
        .size:           4
        .value_kind:     by_value
      - .actual_access:  read_only
        .address_space:  global
        .offset:         8
        .size:           8
        .value_kind:     global_buffer
      - .actual_access:  read_only
        .address_space:  global
        .offset:         16
        .size:           8
        .value_kind:     global_buffer
      - .actual_access:  read_only
        .address_space:  global
        .offset:         24
        .size:           8
        .value_kind:     global_buffer
      - .actual_access:  read_only
        .address_space:  global
        .offset:         32
        .size:           8
        .value_kind:     global_buffer
      - .actual_access:  read_only
        .address_space:  global
        .offset:         40
        .size:           8
        .value_kind:     global_buffer
      - .actual_access:  read_only
        .address_space:  global
        .offset:         48
        .size:           8
        .value_kind:     global_buffer
      - .actual_access:  read_only
        .address_space:  global
        .offset:         56
        .size:           8
        .value_kind:     global_buffer
      - .actual_access:  read_only
        .address_space:  global
        .offset:         64
        .size:           8
        .value_kind:     global_buffer
      - .actual_access:  read_only
        .address_space:  global
        .offset:         72
        .size:           8
        .value_kind:     global_buffer
      - .actual_access:  write_only
        .address_space:  global
        .offset:         80
        .size:           8
        .value_kind:     global_buffer
      - .address_space:  global
        .offset:         88
        .size:           8
        .value_kind:     global_buffer
      - .offset:         96
        .size:           4
        .value_kind:     by_value
      - .offset:         100
        .size:           4
        .value_kind:     by_value
      - .offset:         104
        .size:           4
        .value_kind:     by_value
      - .offset:         108
        .size:           4
        .value_kind:     by_value
      - .offset:         112
        .size:           1
        .value_kind:     by_value
      - .offset:         113
        .size:           1
        .value_kind:     by_value
    .group_segment_fixed_size: 10244
    .kernarg_segment_align: 8
    .kernarg_segment_size: 116
    .language:       OpenCL C
    .language_version:
      - 2
      - 0
    .max_flat_workgroup_size: 512
    .name:           _ZN9rocsparseL45csrgemm_symbolic_fill_block_per_row_multipassILj512ELj16ELj2048ELj32EliEEvT4_PKS1_S3_PKT3_S3_S6_S3_S6_S3_S6_PS1_PS4_21rocsparse_index_base_S9_S9_S9_bb
    .private_segment_fixed_size: 0
    .sgpr_count:     58
    .sgpr_spill_count: 0
    .symbol:         _ZN9rocsparseL45csrgemm_symbolic_fill_block_per_row_multipassILj512ELj16ELj2048ELj32EliEEvT4_PKS1_S3_PKT3_S3_S6_S3_S6_S3_S6_PS1_PS4_21rocsparse_index_base_S9_S9_S9_bb.kd
    .uniform_work_group_size: 1
    .uses_dynamic_stack: false
    .vgpr_count:     34
    .vgpr_spill_count: 0
    .wavefront_size: 32
    .workgroup_processor_mode: 1
  - .args:
      - .offset:         0
        .size:           4
        .value_kind:     by_value
      - .actual_access:  read_only
        .address_space:  global
        .offset:         8
        .size:           8
        .value_kind:     global_buffer
      - .actual_access:  read_only
        .address_space:  global
        .offset:         16
        .size:           8
        .value_kind:     global_buffer
      - .actual_access:  read_only
        .address_space:  global
        .offset:         24
        .size:           8
        .value_kind:     global_buffer
      - .actual_access:  read_only
        .address_space:  global
        .offset:         32
        .size:           8
        .value_kind:     global_buffer
      - .actual_access:  read_only
        .address_space:  global
        .offset:         40
        .size:           8
        .value_kind:     global_buffer
      - .actual_access:  read_only
        .address_space:  global
        .offset:         48
        .size:           8
        .value_kind:     global_buffer
      - .actual_access:  read_only
        .address_space:  global
        .offset:         56
        .size:           8
        .value_kind:     global_buffer
      - .actual_access:  read_only
        .address_space:  global
        .offset:         64
        .size:           8
        .value_kind:     global_buffer
      - .actual_access:  read_only
        .address_space:  global
        .offset:         72
        .size:           8
        .value_kind:     global_buffer
      - .actual_access:  write_only
        .address_space:  global
        .offset:         80
        .size:           8
        .value_kind:     global_buffer
      - .address_space:  global
        .offset:         88
        .size:           8
        .value_kind:     global_buffer
      - .offset:         96
        .size:           4
        .value_kind:     by_value
      - .offset:         100
        .size:           4
        .value_kind:     by_value
      - .offset:         104
        .size:           4
        .value_kind:     by_value
      - .offset:         108
        .size:           4
        .value_kind:     by_value
      - .offset:         112
        .size:           1
        .value_kind:     by_value
      - .offset:         113
        .size:           1
        .value_kind:     by_value
    .group_segment_fixed_size: 10244
    .kernarg_segment_align: 8
    .kernarg_segment_size: 116
    .language:       OpenCL C
    .language_version:
      - 2
      - 0
    .max_flat_workgroup_size: 512
    .name:           _ZN9rocsparseL45csrgemm_symbolic_fill_block_per_row_multipassILj512ELj16ELj2048ELj64EliEEvT4_PKS1_S3_PKT3_S3_S6_S3_S6_S3_S6_PS1_PS4_21rocsparse_index_base_S9_S9_S9_bb
    .private_segment_fixed_size: 0
    .sgpr_count:     50
    .sgpr_spill_count: 0
    .symbol:         _ZN9rocsparseL45csrgemm_symbolic_fill_block_per_row_multipassILj512ELj16ELj2048ELj64EliEEvT4_PKS1_S3_PKT3_S3_S6_S3_S6_S3_S6_PS1_PS4_21rocsparse_index_base_S9_S9_S9_bb.kd
    .uniform_work_group_size: 1
    .uses_dynamic_stack: false
    .vgpr_count:     34
    .vgpr_spill_count: 0
    .wavefront_size: 32
    .workgroup_processor_mode: 1
  - .args:
      - .offset:         0
        .size:           8
        .value_kind:     by_value
      - .actual_access:  read_only
        .address_space:  global
        .offset:         8
        .size:           8
        .value_kind:     global_buffer
      - .actual_access:  write_only
        .address_space:  global
        .offset:         16
        .size:           8
        .value_kind:     global_buffer
      - .offset:         24
        .size:           4
        .value_kind:     hidden_block_count_x
      - .offset:         28
        .size:           4
        .value_kind:     hidden_block_count_y
      - .offset:         32
        .size:           4
        .value_kind:     hidden_block_count_z
      - .offset:         36
        .size:           2
        .value_kind:     hidden_group_size_x
      - .offset:         38
        .size:           2
        .value_kind:     hidden_group_size_y
      - .offset:         40
        .size:           2
        .value_kind:     hidden_group_size_z
      - .offset:         42
        .size:           2
        .value_kind:     hidden_remainder_x
      - .offset:         44
        .size:           2
        .value_kind:     hidden_remainder_y
      - .offset:         46
        .size:           2
        .value_kind:     hidden_remainder_z
      - .offset:         64
        .size:           8
        .value_kind:     hidden_global_offset_x
      - .offset:         72
        .size:           8
        .value_kind:     hidden_global_offset_y
      - .offset:         80
        .size:           8
        .value_kind:     hidden_global_offset_z
      - .offset:         88
        .size:           2
        .value_kind:     hidden_grid_dims
    .group_segment_fixed_size: 2048
    .kernarg_segment_align: 8
    .kernarg_segment_size: 280
    .language:       OpenCL C
    .language_version:
      - 2
      - 0
    .max_flat_workgroup_size: 256
    .name:           _ZN9rocsparseL34csrgemm_symbolic_max_row_nnz_part1ILj256EllEEvT1_PKT0_PS1_
    .private_segment_fixed_size: 0
    .sgpr_count:     14
    .sgpr_spill_count: 0
    .symbol:         _ZN9rocsparseL34csrgemm_symbolic_max_row_nnz_part1ILj256EllEEvT1_PKT0_PS1_.kd
    .uniform_work_group_size: 1
    .uses_dynamic_stack: false
    .vgpr_count:     11
    .vgpr_spill_count: 0
    .wavefront_size: 32
    .workgroup_processor_mode: 1
  - .args:
      - .address_space:  global
        .offset:         0
        .size:           8
        .value_kind:     global_buffer
    .group_segment_fixed_size: 2048
    .kernarg_segment_align: 8
    .kernarg_segment_size: 8
    .language:       OpenCL C
    .language_version:
      - 2
      - 0
    .max_flat_workgroup_size: 256
    .name:           _ZN9rocsparseL34csrgemm_symbolic_max_row_nnz_part2ILj256ElEEvPT0_
    .private_segment_fixed_size: 0
    .sgpr_count:     8
    .sgpr_spill_count: 0
    .symbol:         _ZN9rocsparseL34csrgemm_symbolic_max_row_nnz_part2ILj256ElEEvPT0_.kd
    .uniform_work_group_size: 1
    .uses_dynamic_stack: false
    .vgpr_count:     6
    .vgpr_spill_count: 0
    .wavefront_size: 32
    .workgroup_processor_mode: 1
  - .args:
      - .offset:         0
        .size:           8
        .value_kind:     by_value
      - .actual_access:  read_only
        .address_space:  global
        .offset:         8
        .size:           8
        .value_kind:     global_buffer
      - .actual_access:  write_only
        .address_space:  global
        .offset:         16
        .size:           8
        .value_kind:     global_buffer
      - .actual_access:  write_only
        .address_space:  global
        .offset:         24
        .size:           8
        .value_kind:     global_buffer
      - .offset:         32
        .size:           4
        .value_kind:     by_value
      - .offset:         40
        .size:           4
        .value_kind:     hidden_block_count_x
      - .offset:         44
        .size:           4
        .value_kind:     hidden_block_count_y
      - .offset:         48
        .size:           4
        .value_kind:     hidden_block_count_z
      - .offset:         52
        .size:           2
        .value_kind:     hidden_group_size_x
      - .offset:         54
        .size:           2
        .value_kind:     hidden_group_size_y
      - .offset:         56
        .size:           2
        .value_kind:     hidden_group_size_z
      - .offset:         58
        .size:           2
        .value_kind:     hidden_remainder_x
      - .offset:         60
        .size:           2
        .value_kind:     hidden_remainder_y
      - .offset:         62
        .size:           2
        .value_kind:     hidden_remainder_z
      - .offset:         80
        .size:           8
        .value_kind:     hidden_global_offset_x
      - .offset:         88
        .size:           8
        .value_kind:     hidden_global_offset_y
      - .offset:         96
        .size:           8
        .value_kind:     hidden_global_offset_z
      - .offset:         104
        .size:           2
        .value_kind:     hidden_grid_dims
    .group_segment_fixed_size: 22528
    .kernarg_segment_align: 8
    .kernarg_segment_size: 296
    .language:       OpenCL C
    .language_version:
      - 2
      - 0
    .max_flat_workgroup_size: 256
    .name:           _ZN9rocsparseL35csrgemm_symbolic_group_reduce_part2ILj256ELj11EllEEvT2_PKT1_PS1_Pij
    .private_segment_fixed_size: 0
    .sgpr_count:     29
    .sgpr_spill_count: 0
    .symbol:         _ZN9rocsparseL35csrgemm_symbolic_group_reduce_part2ILj256ELj11EllEEvT2_PKT1_PS1_Pij.kd
    .uniform_work_group_size: 1
    .uses_dynamic_stack: false
    .vgpr_count:     46
    .vgpr_spill_count: 0
    .wavefront_size: 32
    .workgroup_processor_mode: 1
  - .args:
      - .address_space:  global
        .offset:         0
        .size:           8
        .value_kind:     global_buffer
    .group_segment_fixed_size: 22528
    .kernarg_segment_align: 8
    .kernarg_segment_size: 8
    .language:       OpenCL C
    .language_version:
      - 2
      - 0
    .max_flat_workgroup_size: 256
    .name:           _ZN9rocsparseL35csrgemm_symbolic_group_reduce_part3ILj256ELj11ElEEvPT1_
    .private_segment_fixed_size: 0
    .sgpr_count:     8
    .sgpr_spill_count: 0
    .symbol:         _ZN9rocsparseL35csrgemm_symbolic_group_reduce_part3ILj256ELj11ElEEvPT1_.kd
    .uniform_work_group_size: 1
    .uses_dynamic_stack: false
    .vgpr_count:     46
    .vgpr_spill_count: 0
    .wavefront_size: 32
    .workgroup_processor_mode: 1
  - .args:
      - .offset:         0
        .size:           8
        .value_kind:     by_value
      - .offset:         8
        .size:           8
        .value_kind:     by_value
      - .actual_access:  read_only
        .address_space:  global
        .offset:         16
        .size:           8
        .value_kind:     global_buffer
      - .actual_access:  read_only
        .address_space:  global
        .offset:         24
        .size:           8
        .value_kind:     global_buffer
      - .actual_access:  read_only
        .address_space:  global
        .offset:         32
        .size:           8
        .value_kind:     global_buffer
      - .actual_access:  read_only
        .address_space:  global
        .offset:         40
        .size:           8
        .value_kind:     global_buffer
      - .actual_access:  read_only
        .address_space:  global
        .offset:         48
        .size:           8
        .value_kind:     global_buffer
      - .actual_access:  read_only
        .address_space:  global
        .offset:         56
        .size:           8
        .value_kind:     global_buffer
      - .actual_access:  read_only
        .address_space:  global
        .offset:         64
        .size:           8
        .value_kind:     global_buffer
      - .actual_access:  read_only
        .address_space:  global
        .offset:         72
        .size:           8
        .value_kind:     global_buffer
      - .actual_access:  read_only
        .address_space:  global
        .offset:         80
        .size:           8
        .value_kind:     global_buffer
      - .actual_access:  write_only
        .address_space:  global
        .offset:         88
        .size:           8
        .value_kind:     global_buffer
      - .offset:         96
        .size:           4
        .value_kind:     by_value
      - .offset:         100
        .size:           4
        .value_kind:     by_value
      - .offset:         104
        .size:           4
        .value_kind:     by_value
      - .offset:         108
        .size:           4
        .value_kind:     by_value
      - .offset:         112
        .size:           1
        .value_kind:     by_value
      - .offset:         113
        .size:           1
        .value_kind:     by_value
    .group_segment_fixed_size: 4096
    .kernarg_segment_align: 8
    .kernarg_segment_size: 116
    .language:       OpenCL C
    .language_version:
      - 2
      - 0
    .max_flat_workgroup_size: 256
    .name:           _ZN9rocsparseL32csrgemm_symbolic_fill_wf_per_rowILj256ELj8ELj16ELj137EllEEvT4_S1_PKS1_S3_PKT3_S3_S6_S3_S6_S3_S6_PS1_21rocsparse_index_base_S8_S8_S8_bb
    .private_segment_fixed_size: 0
    .sgpr_count:     34
    .sgpr_spill_count: 0
    .symbol:         _ZN9rocsparseL32csrgemm_symbolic_fill_wf_per_rowILj256ELj8ELj16ELj137EllEEvT4_S1_PKS1_S3_PKT3_S3_S6_S3_S6_S3_S6_PS1_21rocsparse_index_base_S8_S8_S8_bb.kd
    .uniform_work_group_size: 1
    .uses_dynamic_stack: false
    .vgpr_count:     41
    .vgpr_spill_count: 0
    .wavefront_size: 32
    .workgroup_processor_mode: 1
  - .args:
      - .offset:         0
        .size:           8
        .value_kind:     by_value
      - .offset:         8
        .size:           8
        .value_kind:     by_value
      - .actual_access:  read_only
        .address_space:  global
        .offset:         16
        .size:           8
        .value_kind:     global_buffer
      - .actual_access:  read_only
        .address_space:  global
        .offset:         24
        .size:           8
        .value_kind:     global_buffer
      - .actual_access:  read_only
        .address_space:  global
        .offset:         32
        .size:           8
        .value_kind:     global_buffer
      - .actual_access:  read_only
        .address_space:  global
        .offset:         40
        .size:           8
        .value_kind:     global_buffer
      - .actual_access:  read_only
        .address_space:  global
        .offset:         48
        .size:           8
        .value_kind:     global_buffer
      - .actual_access:  read_only
        .address_space:  global
        .offset:         56
        .size:           8
        .value_kind:     global_buffer
      - .actual_access:  read_only
        .address_space:  global
        .offset:         64
        .size:           8
        .value_kind:     global_buffer
      - .actual_access:  read_only
        .address_space:  global
        .offset:         72
        .size:           8
        .value_kind:     global_buffer
      - .actual_access:  read_only
        .address_space:  global
        .offset:         80
        .size:           8
        .value_kind:     global_buffer
      - .actual_access:  write_only
        .address_space:  global
        .offset:         88
        .size:           8
        .value_kind:     global_buffer
      - .offset:         96
        .size:           4
        .value_kind:     by_value
      - .offset:         100
        .size:           4
        .value_kind:     by_value
      - .offset:         104
        .size:           4
        .value_kind:     by_value
      - .offset:         108
        .size:           4
        .value_kind:     by_value
      - .offset:         112
        .size:           1
        .value_kind:     by_value
      - .offset:         113
        .size:           1
        .value_kind:     by_value
    .group_segment_fixed_size: 4096
    .kernarg_segment_align: 8
    .kernarg_segment_size: 116
    .language:       OpenCL C
    .language_version:
      - 2
      - 0
    .max_flat_workgroup_size: 256
    .name:           _ZN9rocsparseL32csrgemm_symbolic_fill_wf_per_rowILj256ELj16ELj32ELj137EllEEvT4_S1_PKS1_S3_PKT3_S3_S6_S3_S6_S3_S6_PS1_21rocsparse_index_base_S8_S8_S8_bb
    .private_segment_fixed_size: 0
    .sgpr_count:     34
    .sgpr_spill_count: 0
    .symbol:         _ZN9rocsparseL32csrgemm_symbolic_fill_wf_per_rowILj256ELj16ELj32ELj137EllEEvT4_S1_PKS1_S3_PKT3_S3_S6_S3_S6_S3_S6_PS1_21rocsparse_index_base_S8_S8_S8_bb.kd
    .uniform_work_group_size: 1
    .uses_dynamic_stack: false
    .vgpr_count:     61
    .vgpr_spill_count: 0
    .wavefront_size: 32
    .workgroup_processor_mode: 1
  - .args:
      - .offset:         0
        .size:           8
        .value_kind:     by_value
      - .actual_access:  read_only
        .address_space:  global
        .offset:         8
        .size:           8
        .value_kind:     global_buffer
      - .actual_access:  read_only
        .address_space:  global
        .offset:         16
        .size:           8
        .value_kind:     global_buffer
      - .actual_access:  read_only
        .address_space:  global
        .offset:         24
        .size:           8
        .value_kind:     global_buffer
      - .actual_access:  read_only
        .address_space:  global
        .offset:         32
        .size:           8
        .value_kind:     global_buffer
      - .actual_access:  read_only
        .address_space:  global
        .offset:         40
        .size:           8
        .value_kind:     global_buffer
      - .actual_access:  read_only
        .address_space:  global
        .offset:         48
        .size:           8
        .value_kind:     global_buffer
      - .actual_access:  read_only
        .address_space:  global
        .offset:         56
        .size:           8
        .value_kind:     global_buffer
      - .actual_access:  read_only
        .address_space:  global
        .offset:         64
        .size:           8
        .value_kind:     global_buffer
      - .actual_access:  read_only
        .address_space:  global
        .offset:         72
        .size:           8
        .value_kind:     global_buffer
      - .actual_access:  write_only
        .address_space:  global
        .offset:         80
        .size:           8
        .value_kind:     global_buffer
      - .offset:         88
        .size:           4
        .value_kind:     by_value
      - .offset:         92
        .size:           4
        .value_kind:     by_value
      - .offset:         96
        .size:           4
        .value_kind:     by_value
      - .offset:         100
        .size:           4
        .value_kind:     by_value
      - .offset:         104
        .size:           1
        .value_kind:     by_value
      - .offset:         105
        .size:           1
        .value_kind:     by_value
    .group_segment_fixed_size: 0
    .kernarg_segment_align: 8
    .kernarg_segment_size: 108
    .language:       OpenCL C
    .language_version:
      - 2
      - 0
    .max_flat_workgroup_size: 128
    .name:           _ZN9rocsparseL35csrgemm_symbolic_fill_block_per_rowILj128ELj16ELj256ELj137ELj32EllEEvT5_PKS1_S3_PKT4_S3_S6_S3_S6_S3_S6_PS1_21rocsparse_index_base_S8_S8_S8_bb
    .private_segment_fixed_size: 0
    .sgpr_count:     38
    .sgpr_spill_count: 0
    .symbol:         _ZN9rocsparseL35csrgemm_symbolic_fill_block_per_rowILj128ELj16ELj256ELj137ELj32EllEEvT5_PKS1_S3_PKT4_S3_S6_S3_S6_S3_S6_PS1_21rocsparse_index_base_S8_S8_S8_bb.kd
    .uniform_work_group_size: 1
    .uses_dynamic_stack: false
    .vgpr_count:     22
    .vgpr_spill_count: 0
    .wavefront_size: 32
    .workgroup_processor_mode: 1
  - .args:
      - .offset:         0
        .size:           8
        .value_kind:     by_value
      - .actual_access:  read_only
        .address_space:  global
        .offset:         8
        .size:           8
        .value_kind:     global_buffer
      - .actual_access:  read_only
        .address_space:  global
        .offset:         16
        .size:           8
        .value_kind:     global_buffer
      - .actual_access:  read_only
        .address_space:  global
        .offset:         24
        .size:           8
        .value_kind:     global_buffer
      - .actual_access:  read_only
        .address_space:  global
        .offset:         32
        .size:           8
        .value_kind:     global_buffer
      - .actual_access:  read_only
        .address_space:  global
        .offset:         40
        .size:           8
        .value_kind:     global_buffer
      - .actual_access:  read_only
        .address_space:  global
        .offset:         48
        .size:           8
        .value_kind:     global_buffer
      - .actual_access:  read_only
        .address_space:  global
        .offset:         56
        .size:           8
        .value_kind:     global_buffer
      - .actual_access:  read_only
        .address_space:  global
        .offset:         64
        .size:           8
        .value_kind:     global_buffer
      - .actual_access:  read_only
        .address_space:  global
        .offset:         72
        .size:           8
        .value_kind:     global_buffer
      - .actual_access:  write_only
        .address_space:  global
        .offset:         80
        .size:           8
        .value_kind:     global_buffer
      - .offset:         88
        .size:           4
        .value_kind:     by_value
      - .offset:         92
        .size:           4
        .value_kind:     by_value
      - .offset:         96
        .size:           4
        .value_kind:     by_value
      - .offset:         100
        .size:           4
        .value_kind:     by_value
      - .offset:         104
        .size:           1
        .value_kind:     by_value
      - .offset:         105
        .size:           1
        .value_kind:     by_value
    .group_segment_fixed_size: 0
    .kernarg_segment_align: 8
    .kernarg_segment_size: 108
    .language:       OpenCL C
    .language_version:
      - 2
      - 0
    .max_flat_workgroup_size: 128
    .name:           _ZN9rocsparseL35csrgemm_symbolic_fill_block_per_rowILj128ELj16ELj256ELj137ELj64EllEEvT5_PKS1_S3_PKT4_S3_S6_S3_S6_S3_S6_PS1_21rocsparse_index_base_S8_S8_S8_bb
    .private_segment_fixed_size: 0
    .sgpr_count:     38
    .sgpr_spill_count: 0
    .symbol:         _ZN9rocsparseL35csrgemm_symbolic_fill_block_per_rowILj128ELj16ELj256ELj137ELj64EllEEvT5_PKS1_S3_PKT4_S3_S6_S3_S6_S3_S6_PS1_21rocsparse_index_base_S8_S8_S8_bb.kd
    .uniform_work_group_size: 1
    .uses_dynamic_stack: false
    .vgpr_count:     22
    .vgpr_spill_count: 0
    .wavefront_size: 32
    .workgroup_processor_mode: 1
  - .args:
      - .offset:         0
        .size:           8
        .value_kind:     by_value
      - .actual_access:  read_only
        .address_space:  global
        .offset:         8
        .size:           8
        .value_kind:     global_buffer
      - .actual_access:  read_only
        .address_space:  global
        .offset:         16
        .size:           8
        .value_kind:     global_buffer
      - .actual_access:  read_only
        .address_space:  global
        .offset:         24
        .size:           8
        .value_kind:     global_buffer
      - .actual_access:  read_only
        .address_space:  global
        .offset:         32
        .size:           8
        .value_kind:     global_buffer
      - .actual_access:  read_only
        .address_space:  global
        .offset:         40
        .size:           8
        .value_kind:     global_buffer
      - .actual_access:  read_only
        .address_space:  global
        .offset:         48
        .size:           8
        .value_kind:     global_buffer
      - .actual_access:  read_only
        .address_space:  global
        .offset:         56
        .size:           8
        .value_kind:     global_buffer
      - .actual_access:  read_only
        .address_space:  global
        .offset:         64
        .size:           8
        .value_kind:     global_buffer
      - .actual_access:  read_only
        .address_space:  global
        .offset:         72
        .size:           8
        .value_kind:     global_buffer
      - .actual_access:  write_only
        .address_space:  global
        .offset:         80
        .size:           8
        .value_kind:     global_buffer
      - .offset:         88
        .size:           4
        .value_kind:     by_value
      - .offset:         92
        .size:           4
        .value_kind:     by_value
      - .offset:         96
        .size:           4
        .value_kind:     by_value
      - .offset:         100
        .size:           4
        .value_kind:     by_value
      - .offset:         104
        .size:           1
        .value_kind:     by_value
      - .offset:         105
        .size:           1
        .value_kind:     by_value
    .group_segment_fixed_size: 0
    .kernarg_segment_align: 8
    .kernarg_segment_size: 108
    .language:       OpenCL C
    .language_version:
      - 2
      - 0
    .max_flat_workgroup_size: 256
    .name:           _ZN9rocsparseL35csrgemm_symbolic_fill_block_per_rowILj256ELj32ELj512ELj137ELj32EllEEvT5_PKS1_S3_PKT4_S3_S6_S3_S6_S3_S6_PS1_21rocsparse_index_base_S8_S8_S8_bb
    .private_segment_fixed_size: 0
    .sgpr_count:     38
    .sgpr_spill_count: 0
    .symbol:         _ZN9rocsparseL35csrgemm_symbolic_fill_block_per_rowILj256ELj32ELj512ELj137ELj32EllEEvT5_PKS1_S3_PKT4_S3_S6_S3_S6_S3_S6_PS1_21rocsparse_index_base_S8_S8_S8_bb.kd
    .uniform_work_group_size: 1
    .uses_dynamic_stack: false
    .vgpr_count:     22
    .vgpr_spill_count: 0
    .wavefront_size: 32
    .workgroup_processor_mode: 1
  - .args:
      - .offset:         0
        .size:           8
        .value_kind:     by_value
      - .actual_access:  read_only
        .address_space:  global
        .offset:         8
        .size:           8
        .value_kind:     global_buffer
      - .actual_access:  read_only
        .address_space:  global
        .offset:         16
        .size:           8
        .value_kind:     global_buffer
      - .actual_access:  read_only
        .address_space:  global
        .offset:         24
        .size:           8
        .value_kind:     global_buffer
      - .actual_access:  read_only
        .address_space:  global
        .offset:         32
        .size:           8
        .value_kind:     global_buffer
      - .actual_access:  read_only
        .address_space:  global
        .offset:         40
        .size:           8
        .value_kind:     global_buffer
      - .actual_access:  read_only
        .address_space:  global
        .offset:         48
        .size:           8
        .value_kind:     global_buffer
      - .actual_access:  read_only
        .address_space:  global
        .offset:         56
        .size:           8
        .value_kind:     global_buffer
      - .actual_access:  read_only
        .address_space:  global
        .offset:         64
        .size:           8
        .value_kind:     global_buffer
      - .actual_access:  read_only
        .address_space:  global
        .offset:         72
        .size:           8
        .value_kind:     global_buffer
      - .actual_access:  write_only
        .address_space:  global
        .offset:         80
        .size:           8
        .value_kind:     global_buffer
      - .offset:         88
        .size:           4
        .value_kind:     by_value
      - .offset:         92
        .size:           4
        .value_kind:     by_value
      - .offset:         96
        .size:           4
        .value_kind:     by_value
      - .offset:         100
        .size:           4
        .value_kind:     by_value
      - .offset:         104
        .size:           1
        .value_kind:     by_value
      - .offset:         105
        .size:           1
        .value_kind:     by_value
    .group_segment_fixed_size: 0
    .kernarg_segment_align: 8
    .kernarg_segment_size: 108
    .language:       OpenCL C
    .language_version:
      - 2
      - 0
    .max_flat_workgroup_size: 256
    .name:           _ZN9rocsparseL35csrgemm_symbolic_fill_block_per_rowILj256ELj32ELj512ELj137ELj64EllEEvT5_PKS1_S3_PKT4_S3_S6_S3_S6_S3_S6_PS1_21rocsparse_index_base_S8_S8_S8_bb
    .private_segment_fixed_size: 0
    .sgpr_count:     38
    .sgpr_spill_count: 0
    .symbol:         _ZN9rocsparseL35csrgemm_symbolic_fill_block_per_rowILj256ELj32ELj512ELj137ELj64EllEEvT5_PKS1_S3_PKT4_S3_S6_S3_S6_S3_S6_PS1_21rocsparse_index_base_S8_S8_S8_bb.kd
    .uniform_work_group_size: 1
    .uses_dynamic_stack: false
    .vgpr_count:     22
    .vgpr_spill_count: 0
    .wavefront_size: 32
    .workgroup_processor_mode: 1
  - .args:
      - .offset:         0
        .size:           8
        .value_kind:     by_value
      - .actual_access:  read_only
        .address_space:  global
        .offset:         8
        .size:           8
        .value_kind:     global_buffer
      - .actual_access:  read_only
        .address_space:  global
        .offset:         16
        .size:           8
        .value_kind:     global_buffer
      - .actual_access:  read_only
        .address_space:  global
        .offset:         24
        .size:           8
        .value_kind:     global_buffer
      - .actual_access:  read_only
        .address_space:  global
        .offset:         32
        .size:           8
        .value_kind:     global_buffer
      - .actual_access:  read_only
        .address_space:  global
        .offset:         40
        .size:           8
        .value_kind:     global_buffer
      - .actual_access:  read_only
        .address_space:  global
        .offset:         48
        .size:           8
        .value_kind:     global_buffer
      - .actual_access:  read_only
        .address_space:  global
        .offset:         56
        .size:           8
        .value_kind:     global_buffer
      - .actual_access:  read_only
        .address_space:  global
        .offset:         64
        .size:           8
        .value_kind:     global_buffer
      - .actual_access:  read_only
        .address_space:  global
        .offset:         72
        .size:           8
        .value_kind:     global_buffer
      - .actual_access:  write_only
        .address_space:  global
        .offset:         80
        .size:           8
        .value_kind:     global_buffer
      - .offset:         88
        .size:           4
        .value_kind:     by_value
      - .offset:         92
        .size:           4
        .value_kind:     by_value
      - .offset:         96
        .size:           4
        .value_kind:     by_value
      - .offset:         100
        .size:           4
        .value_kind:     by_value
      - .offset:         104
        .size:           1
        .value_kind:     by_value
      - .offset:         105
        .size:           1
        .value_kind:     by_value
    .group_segment_fixed_size: 0
    .kernarg_segment_align: 8
    .kernarg_segment_size: 108
    .language:       OpenCL C
    .language_version:
      - 2
      - 0
    .max_flat_workgroup_size: 512
    .name:           _ZN9rocsparseL35csrgemm_symbolic_fill_block_per_rowILj512ELj32ELj1024ELj137ELj32EllEEvT5_PKS1_S3_PKT4_S3_S6_S3_S6_S3_S6_PS1_21rocsparse_index_base_S8_S8_S8_bb
    .private_segment_fixed_size: 0
    .sgpr_count:     38
    .sgpr_spill_count: 0
    .symbol:         _ZN9rocsparseL35csrgemm_symbolic_fill_block_per_rowILj512ELj32ELj1024ELj137ELj32EllEEvT5_PKS1_S3_PKT4_S3_S6_S3_S6_S3_S6_PS1_21rocsparse_index_base_S8_S8_S8_bb.kd
    .uniform_work_group_size: 1
    .uses_dynamic_stack: false
    .vgpr_count:     22
    .vgpr_spill_count: 0
    .wavefront_size: 32
    .workgroup_processor_mode: 1
  - .args:
      - .offset:         0
        .size:           8
        .value_kind:     by_value
      - .actual_access:  read_only
        .address_space:  global
        .offset:         8
        .size:           8
        .value_kind:     global_buffer
      - .actual_access:  read_only
        .address_space:  global
        .offset:         16
        .size:           8
        .value_kind:     global_buffer
      - .actual_access:  read_only
        .address_space:  global
        .offset:         24
        .size:           8
        .value_kind:     global_buffer
      - .actual_access:  read_only
        .address_space:  global
        .offset:         32
        .size:           8
        .value_kind:     global_buffer
      - .actual_access:  read_only
        .address_space:  global
        .offset:         40
        .size:           8
        .value_kind:     global_buffer
      - .actual_access:  read_only
        .address_space:  global
        .offset:         48
        .size:           8
        .value_kind:     global_buffer
      - .actual_access:  read_only
        .address_space:  global
        .offset:         56
        .size:           8
        .value_kind:     global_buffer
      - .actual_access:  read_only
        .address_space:  global
        .offset:         64
        .size:           8
        .value_kind:     global_buffer
      - .actual_access:  read_only
        .address_space:  global
        .offset:         72
        .size:           8
        .value_kind:     global_buffer
      - .actual_access:  write_only
        .address_space:  global
        .offset:         80
        .size:           8
        .value_kind:     global_buffer
      - .offset:         88
        .size:           4
        .value_kind:     by_value
      - .offset:         92
        .size:           4
        .value_kind:     by_value
      - .offset:         96
        .size:           4
        .value_kind:     by_value
      - .offset:         100
        .size:           4
        .value_kind:     by_value
      - .offset:         104
        .size:           1
        .value_kind:     by_value
      - .offset:         105
        .size:           1
        .value_kind:     by_value
    .group_segment_fixed_size: 0
    .kernarg_segment_align: 8
    .kernarg_segment_size: 108
    .language:       OpenCL C
    .language_version:
      - 2
      - 0
    .max_flat_workgroup_size: 512
    .name:           _ZN9rocsparseL35csrgemm_symbolic_fill_block_per_rowILj512ELj32ELj1024ELj137ELj64EllEEvT5_PKS1_S3_PKT4_S3_S6_S3_S6_S3_S6_PS1_21rocsparse_index_base_S8_S8_S8_bb
    .private_segment_fixed_size: 0
    .sgpr_count:     38
    .sgpr_spill_count: 0
    .symbol:         _ZN9rocsparseL35csrgemm_symbolic_fill_block_per_rowILj512ELj32ELj1024ELj137ELj64EllEEvT5_PKS1_S3_PKT4_S3_S6_S3_S6_S3_S6_PS1_21rocsparse_index_base_S8_S8_S8_bb.kd
    .uniform_work_group_size: 1
    .uses_dynamic_stack: false
    .vgpr_count:     22
    .vgpr_spill_count: 0
    .wavefront_size: 32
    .workgroup_processor_mode: 1
  - .args:
      - .offset:         0
        .size:           8
        .value_kind:     by_value
      - .actual_access:  read_only
        .address_space:  global
        .offset:         8
        .size:           8
        .value_kind:     global_buffer
      - .actual_access:  read_only
        .address_space:  global
        .offset:         16
        .size:           8
        .value_kind:     global_buffer
      - .actual_access:  read_only
        .address_space:  global
        .offset:         24
        .size:           8
        .value_kind:     global_buffer
      - .actual_access:  read_only
        .address_space:  global
        .offset:         32
        .size:           8
        .value_kind:     global_buffer
      - .actual_access:  read_only
        .address_space:  global
        .offset:         40
        .size:           8
        .value_kind:     global_buffer
      - .actual_access:  read_only
        .address_space:  global
        .offset:         48
        .size:           8
        .value_kind:     global_buffer
      - .actual_access:  read_only
        .address_space:  global
        .offset:         56
        .size:           8
        .value_kind:     global_buffer
      - .actual_access:  read_only
        .address_space:  global
        .offset:         64
        .size:           8
        .value_kind:     global_buffer
      - .actual_access:  read_only
        .address_space:  global
        .offset:         72
        .size:           8
        .value_kind:     global_buffer
      - .actual_access:  write_only
        .address_space:  global
        .offset:         80
        .size:           8
        .value_kind:     global_buffer
      - .offset:         88
        .size:           4
        .value_kind:     by_value
      - .offset:         92
        .size:           4
        .value_kind:     by_value
      - .offset:         96
        .size:           4
        .value_kind:     by_value
      - .offset:         100
        .size:           4
        .value_kind:     by_value
      - .offset:         104
        .size:           1
        .value_kind:     by_value
      - .offset:         105
        .size:           1
        .value_kind:     by_value
    .group_segment_fixed_size: 0
    .kernarg_segment_align: 8
    .kernarg_segment_size: 108
    .language:       OpenCL C
    .language_version:
      - 2
      - 0
    .max_flat_workgroup_size: 1024
    .name:           _ZN9rocsparseL35csrgemm_symbolic_fill_block_per_rowILj1024ELj32ELj2048ELj137ELj32EllEEvT5_PKS1_S3_PKT4_S3_S6_S3_S6_S3_S6_PS1_21rocsparse_index_base_S8_S8_S8_bb
    .private_segment_fixed_size: 0
    .sgpr_count:     54
    .sgpr_spill_count: 0
    .symbol:         _ZN9rocsparseL35csrgemm_symbolic_fill_block_per_rowILj1024ELj32ELj2048ELj137ELj32EllEEvT5_PKS1_S3_PKT4_S3_S6_S3_S6_S3_S6_PS1_21rocsparse_index_base_S8_S8_S8_bb.kd
    .uniform_work_group_size: 1
    .uses_dynamic_stack: false
    .vgpr_count:     22
    .vgpr_spill_count: 0
    .wavefront_size: 32
    .workgroup_processor_mode: 1
  - .args:
      - .offset:         0
        .size:           8
        .value_kind:     by_value
      - .actual_access:  read_only
        .address_space:  global
        .offset:         8
        .size:           8
        .value_kind:     global_buffer
      - .actual_access:  read_only
        .address_space:  global
        .offset:         16
        .size:           8
        .value_kind:     global_buffer
      - .actual_access:  read_only
        .address_space:  global
        .offset:         24
        .size:           8
        .value_kind:     global_buffer
      - .actual_access:  read_only
        .address_space:  global
        .offset:         32
        .size:           8
        .value_kind:     global_buffer
      - .actual_access:  read_only
        .address_space:  global
        .offset:         40
        .size:           8
        .value_kind:     global_buffer
      - .actual_access:  read_only
        .address_space:  global
        .offset:         48
        .size:           8
        .value_kind:     global_buffer
      - .actual_access:  read_only
        .address_space:  global
        .offset:         56
        .size:           8
        .value_kind:     global_buffer
      - .actual_access:  read_only
        .address_space:  global
        .offset:         64
        .size:           8
        .value_kind:     global_buffer
      - .actual_access:  read_only
        .address_space:  global
        .offset:         72
        .size:           8
        .value_kind:     global_buffer
      - .actual_access:  write_only
        .address_space:  global
        .offset:         80
        .size:           8
        .value_kind:     global_buffer
      - .offset:         88
        .size:           4
        .value_kind:     by_value
      - .offset:         92
        .size:           4
        .value_kind:     by_value
      - .offset:         96
        .size:           4
        .value_kind:     by_value
      - .offset:         100
        .size:           4
        .value_kind:     by_value
      - .offset:         104
        .size:           1
        .value_kind:     by_value
      - .offset:         105
        .size:           1
        .value_kind:     by_value
    .group_segment_fixed_size: 0
    .kernarg_segment_align: 8
    .kernarg_segment_size: 108
    .language:       OpenCL C
    .language_version:
      - 2
      - 0
    .max_flat_workgroup_size: 1024
    .name:           _ZN9rocsparseL35csrgemm_symbolic_fill_block_per_rowILj1024ELj32ELj2048ELj137ELj64EllEEvT5_PKS1_S3_PKT4_S3_S6_S3_S6_S3_S6_PS1_21rocsparse_index_base_S8_S8_S8_bb
    .private_segment_fixed_size: 0
    .sgpr_count:     38
    .sgpr_spill_count: 0
    .symbol:         _ZN9rocsparseL35csrgemm_symbolic_fill_block_per_rowILj1024ELj32ELj2048ELj137ELj64EllEEvT5_PKS1_S3_PKT4_S3_S6_S3_S6_S3_S6_PS1_21rocsparse_index_base_S8_S8_S8_bb.kd
    .uniform_work_group_size: 1
    .uses_dynamic_stack: false
    .vgpr_count:     22
    .vgpr_spill_count: 0
    .wavefront_size: 32
    .workgroup_processor_mode: 1
  - .args:
      - .offset:         0
        .size:           8
        .value_kind:     by_value
      - .actual_access:  read_only
        .address_space:  global
        .offset:         8
        .size:           8
        .value_kind:     global_buffer
      - .actual_access:  read_only
        .address_space:  global
        .offset:         16
        .size:           8
        .value_kind:     global_buffer
      - .actual_access:  read_only
        .address_space:  global
        .offset:         24
        .size:           8
        .value_kind:     global_buffer
      - .actual_access:  read_only
        .address_space:  global
        .offset:         32
        .size:           8
        .value_kind:     global_buffer
      - .actual_access:  read_only
        .address_space:  global
        .offset:         40
        .size:           8
        .value_kind:     global_buffer
      - .actual_access:  read_only
        .address_space:  global
        .offset:         48
        .size:           8
        .value_kind:     global_buffer
      - .actual_access:  read_only
        .address_space:  global
        .offset:         56
        .size:           8
        .value_kind:     global_buffer
      - .actual_access:  read_only
        .address_space:  global
        .offset:         64
        .size:           8
        .value_kind:     global_buffer
      - .actual_access:  read_only
        .address_space:  global
        .offset:         72
        .size:           8
        .value_kind:     global_buffer
      - .actual_access:  write_only
        .address_space:  global
        .offset:         80
        .size:           8
        .value_kind:     global_buffer
      - .offset:         88
        .size:           4
        .value_kind:     by_value
      - .offset:         92
        .size:           4
        .value_kind:     by_value
      - .offset:         96
        .size:           4
        .value_kind:     by_value
      - .offset:         100
        .size:           4
        .value_kind:     by_value
      - .offset:         104
        .size:           1
        .value_kind:     by_value
      - .offset:         105
        .size:           1
        .value_kind:     by_value
    .group_segment_fixed_size: 0
    .kernarg_segment_align: 8
    .kernarg_segment_size: 108
    .language:       OpenCL C
    .language_version:
      - 2
      - 0
    .max_flat_workgroup_size: 1024
    .name:           _ZN9rocsparseL35csrgemm_symbolic_fill_block_per_rowILj1024ELj64ELj4096ELj137ELj32EllEEvT5_PKS1_S3_PKT4_S3_S6_S3_S6_S3_S6_PS1_21rocsparse_index_base_S8_S8_S8_bb
    .private_segment_fixed_size: 0
    .sgpr_count:     54
    .sgpr_spill_count: 0
    .symbol:         _ZN9rocsparseL35csrgemm_symbolic_fill_block_per_rowILj1024ELj64ELj4096ELj137ELj32EllEEvT5_PKS1_S3_PKT4_S3_S6_S3_S6_S3_S6_PS1_21rocsparse_index_base_S8_S8_S8_bb.kd
    .uniform_work_group_size: 1
    .uses_dynamic_stack: false
    .vgpr_count:     22
    .vgpr_spill_count: 0
    .wavefront_size: 32
    .workgroup_processor_mode: 1
  - .args:
      - .offset:         0
        .size:           8
        .value_kind:     by_value
      - .actual_access:  read_only
        .address_space:  global
        .offset:         8
        .size:           8
        .value_kind:     global_buffer
      - .actual_access:  read_only
        .address_space:  global
        .offset:         16
        .size:           8
        .value_kind:     global_buffer
      - .actual_access:  read_only
        .address_space:  global
        .offset:         24
        .size:           8
        .value_kind:     global_buffer
      - .actual_access:  read_only
        .address_space:  global
        .offset:         32
        .size:           8
        .value_kind:     global_buffer
      - .actual_access:  read_only
        .address_space:  global
        .offset:         40
        .size:           8
        .value_kind:     global_buffer
      - .actual_access:  read_only
        .address_space:  global
        .offset:         48
        .size:           8
        .value_kind:     global_buffer
      - .actual_access:  read_only
        .address_space:  global
        .offset:         56
        .size:           8
        .value_kind:     global_buffer
      - .actual_access:  read_only
        .address_space:  global
        .offset:         64
        .size:           8
        .value_kind:     global_buffer
      - .actual_access:  read_only
        .address_space:  global
        .offset:         72
        .size:           8
        .value_kind:     global_buffer
      - .actual_access:  write_only
        .address_space:  global
        .offset:         80
        .size:           8
        .value_kind:     global_buffer
      - .offset:         88
        .size:           4
        .value_kind:     by_value
      - .offset:         92
        .size:           4
        .value_kind:     by_value
      - .offset:         96
        .size:           4
        .value_kind:     by_value
      - .offset:         100
        .size:           4
        .value_kind:     by_value
      - .offset:         104
        .size:           1
        .value_kind:     by_value
      - .offset:         105
        .size:           1
        .value_kind:     by_value
    .group_segment_fixed_size: 0
    .kernarg_segment_align: 8
    .kernarg_segment_size: 108
    .language:       OpenCL C
    .language_version:
      - 2
      - 0
    .max_flat_workgroup_size: 1024
    .name:           _ZN9rocsparseL35csrgemm_symbolic_fill_block_per_rowILj1024ELj64ELj4096ELj137ELj64EllEEvT5_PKS1_S3_PKT4_S3_S6_S3_S6_S3_S6_PS1_21rocsparse_index_base_S8_S8_S8_bb
    .private_segment_fixed_size: 0
    .sgpr_count:     38
    .sgpr_spill_count: 0
    .symbol:         _ZN9rocsparseL35csrgemm_symbolic_fill_block_per_rowILj1024ELj64ELj4096ELj137ELj64EllEEvT5_PKS1_S3_PKT4_S3_S6_S3_S6_S3_S6_PS1_21rocsparse_index_base_S8_S8_S8_bb.kd
    .uniform_work_group_size: 1
    .uses_dynamic_stack: false
    .vgpr_count:     22
    .vgpr_spill_count: 0
    .wavefront_size: 32
    .workgroup_processor_mode: 1
  - .args:
      - .offset:         0
        .size:           8
        .value_kind:     by_value
      - .actual_access:  read_only
        .address_space:  global
        .offset:         8
        .size:           8
        .value_kind:     global_buffer
      - .actual_access:  read_only
        .address_space:  global
        .offset:         16
        .size:           8
        .value_kind:     global_buffer
      - .actual_access:  read_only
        .address_space:  global
        .offset:         24
        .size:           8
        .value_kind:     global_buffer
      - .actual_access:  read_only
        .address_space:  global
        .offset:         32
        .size:           8
        .value_kind:     global_buffer
      - .actual_access:  read_only
        .address_space:  global
        .offset:         40
        .size:           8
        .value_kind:     global_buffer
      - .actual_access:  read_only
        .address_space:  global
        .offset:         48
        .size:           8
        .value_kind:     global_buffer
      - .actual_access:  read_only
        .address_space:  global
        .offset:         56
        .size:           8
        .value_kind:     global_buffer
      - .actual_access:  read_only
        .address_space:  global
        .offset:         64
        .size:           8
        .value_kind:     global_buffer
      - .actual_access:  read_only
        .address_space:  global
        .offset:         72
        .size:           8
        .value_kind:     global_buffer
      - .actual_access:  write_only
        .address_space:  global
        .offset:         80
        .size:           8
        .value_kind:     global_buffer
      - .offset:         88
        .size:           4
        .value_kind:     by_value
      - .offset:         92
        .size:           4
        .value_kind:     by_value
      - .offset:         96
        .size:           4
        .value_kind:     by_value
      - .offset:         100
        .size:           4
        .value_kind:     by_value
      - .offset:         104
        .size:           1
        .value_kind:     by_value
      - .offset:         105
        .size:           1
        .value_kind:     by_value
    .group_segment_fixed_size: 0
    .kernarg_segment_align: 8
    .kernarg_segment_size: 108
    .language:       OpenCL C
    .language_version:
      - 2
      - 0
    .max_flat_workgroup_size: 1024
    .name:           _ZN9rocsparseL35csrgemm_symbolic_fill_block_per_rowILj1024ELj64ELj8192ELj137ELj32EllEEvT5_PKS1_S3_PKT4_S3_S6_S3_S6_S3_S6_PS1_21rocsparse_index_base_S8_S8_S8_bb
    .private_segment_fixed_size: 0
    .sgpr_count:     78
    .sgpr_spill_count: 0
    .symbol:         _ZN9rocsparseL35csrgemm_symbolic_fill_block_per_rowILj1024ELj64ELj8192ELj137ELj32EllEEvT5_PKS1_S3_PKT4_S3_S6_S3_S6_S3_S6_PS1_21rocsparse_index_base_S8_S8_S8_bb.kd
    .uniform_work_group_size: 1
    .uses_dynamic_stack: false
    .vgpr_count:     22
    .vgpr_spill_count: 0
    .wavefront_size: 32
    .workgroup_processor_mode: 1
  - .args:
      - .offset:         0
        .size:           8
        .value_kind:     by_value
      - .actual_access:  read_only
        .address_space:  global
        .offset:         8
        .size:           8
        .value_kind:     global_buffer
      - .actual_access:  read_only
        .address_space:  global
        .offset:         16
        .size:           8
        .value_kind:     global_buffer
      - .actual_access:  read_only
        .address_space:  global
        .offset:         24
        .size:           8
        .value_kind:     global_buffer
      - .actual_access:  read_only
        .address_space:  global
        .offset:         32
        .size:           8
        .value_kind:     global_buffer
      - .actual_access:  read_only
        .address_space:  global
        .offset:         40
        .size:           8
        .value_kind:     global_buffer
      - .actual_access:  read_only
        .address_space:  global
        .offset:         48
        .size:           8
        .value_kind:     global_buffer
      - .actual_access:  read_only
        .address_space:  global
        .offset:         56
        .size:           8
        .value_kind:     global_buffer
      - .actual_access:  read_only
        .address_space:  global
        .offset:         64
        .size:           8
        .value_kind:     global_buffer
      - .actual_access:  read_only
        .address_space:  global
        .offset:         72
        .size:           8
        .value_kind:     global_buffer
      - .actual_access:  write_only
        .address_space:  global
        .offset:         80
        .size:           8
        .value_kind:     global_buffer
      - .offset:         88
        .size:           4
        .value_kind:     by_value
      - .offset:         92
        .size:           4
        .value_kind:     by_value
      - .offset:         96
        .size:           4
        .value_kind:     by_value
      - .offset:         100
        .size:           4
        .value_kind:     by_value
      - .offset:         104
        .size:           1
        .value_kind:     by_value
      - .offset:         105
        .size:           1
        .value_kind:     by_value
    .group_segment_fixed_size: 0
    .kernarg_segment_align: 8
    .kernarg_segment_size: 108
    .language:       OpenCL C
    .language_version:
      - 2
      - 0
    .max_flat_workgroup_size: 1024
    .name:           _ZN9rocsparseL35csrgemm_symbolic_fill_block_per_rowILj1024ELj64ELj8192ELj137ELj64EllEEvT5_PKS1_S3_PKT4_S3_S6_S3_S6_S3_S6_PS1_21rocsparse_index_base_S8_S8_S8_bb
    .private_segment_fixed_size: 0
    .sgpr_count:     46
    .sgpr_spill_count: 0
    .symbol:         _ZN9rocsparseL35csrgemm_symbolic_fill_block_per_rowILj1024ELj64ELj8192ELj137ELj64EllEEvT5_PKS1_S3_PKT4_S3_S6_S3_S6_S3_S6_PS1_21rocsparse_index_base_S8_S8_S8_bb.kd
    .uniform_work_group_size: 1
    .uses_dynamic_stack: false
    .vgpr_count:     22
    .vgpr_spill_count: 0
    .wavefront_size: 32
    .workgroup_processor_mode: 1
  - .args:
      - .offset:         0
        .size:           8
        .value_kind:     by_value
      - .actual_access:  read_only
        .address_space:  global
        .offset:         8
        .size:           8
        .value_kind:     global_buffer
      - .actual_access:  read_only
        .address_space:  global
        .offset:         16
        .size:           8
        .value_kind:     global_buffer
      - .actual_access:  read_only
        .address_space:  global
        .offset:         24
        .size:           8
        .value_kind:     global_buffer
      - .actual_access:  read_only
        .address_space:  global
        .offset:         32
        .size:           8
        .value_kind:     global_buffer
      - .actual_access:  read_only
        .address_space:  global
        .offset:         40
        .size:           8
        .value_kind:     global_buffer
      - .actual_access:  read_only
        .address_space:  global
        .offset:         48
        .size:           8
        .value_kind:     global_buffer
      - .actual_access:  read_only
        .address_space:  global
        .offset:         56
        .size:           8
        .value_kind:     global_buffer
      - .actual_access:  read_only
        .address_space:  global
        .offset:         64
        .size:           8
        .value_kind:     global_buffer
      - .actual_access:  read_only
        .address_space:  global
        .offset:         72
        .size:           8
        .value_kind:     global_buffer
      - .actual_access:  write_only
        .address_space:  global
        .offset:         80
        .size:           8
        .value_kind:     global_buffer
      - .offset:         88
        .size:           4
        .value_kind:     by_value
      - .offset:         92
        .size:           4
        .value_kind:     by_value
      - .offset:         96
        .size:           4
        .value_kind:     by_value
      - .offset:         100
        .size:           4
        .value_kind:     by_value
      - .offset:         104
        .size:           1
        .value_kind:     by_value
      - .offset:         105
        .size:           1
        .value_kind:     by_value
    .group_segment_fixed_size: 0
    .kernarg_segment_align: 8
    .kernarg_segment_size: 108
    .language:       OpenCL C
    .language_version:
      - 2
      - 0
    .max_flat_workgroup_size: 1024
    .name:           _ZN9rocsparseL35csrgemm_symbolic_fill_block_per_rowILj1024ELj64ELj16384ELj137ELj32EllEEvT5_PKS1_S3_PKT4_S3_S6_S3_S6_S3_S6_PS1_21rocsparse_index_base_S8_S8_S8_bb
    .private_segment_fixed_size: 0
    .sgpr_count:     78
    .sgpr_spill_count: 0
    .symbol:         _ZN9rocsparseL35csrgemm_symbolic_fill_block_per_rowILj1024ELj64ELj16384ELj137ELj32EllEEvT5_PKS1_S3_PKT4_S3_S6_S3_S6_S3_S6_PS1_21rocsparse_index_base_S8_S8_S8_bb.kd
    .uniform_work_group_size: 1
    .uses_dynamic_stack: false
    .vgpr_count:     22
    .vgpr_spill_count: 0
    .wavefront_size: 32
    .workgroup_processor_mode: 1
  - .args:
      - .offset:         0
        .size:           8
        .value_kind:     by_value
      - .actual_access:  read_only
        .address_space:  global
        .offset:         8
        .size:           8
        .value_kind:     global_buffer
      - .actual_access:  read_only
        .address_space:  global
        .offset:         16
        .size:           8
        .value_kind:     global_buffer
      - .actual_access:  read_only
        .address_space:  global
        .offset:         24
        .size:           8
        .value_kind:     global_buffer
      - .actual_access:  read_only
        .address_space:  global
        .offset:         32
        .size:           8
        .value_kind:     global_buffer
      - .actual_access:  read_only
        .address_space:  global
        .offset:         40
        .size:           8
        .value_kind:     global_buffer
      - .actual_access:  read_only
        .address_space:  global
        .offset:         48
        .size:           8
        .value_kind:     global_buffer
      - .actual_access:  read_only
        .address_space:  global
        .offset:         56
        .size:           8
        .value_kind:     global_buffer
      - .actual_access:  read_only
        .address_space:  global
        .offset:         64
        .size:           8
        .value_kind:     global_buffer
      - .actual_access:  read_only
        .address_space:  global
        .offset:         72
        .size:           8
        .value_kind:     global_buffer
      - .actual_access:  write_only
        .address_space:  global
        .offset:         80
        .size:           8
        .value_kind:     global_buffer
      - .offset:         88
        .size:           4
        .value_kind:     by_value
      - .offset:         92
        .size:           4
        .value_kind:     by_value
      - .offset:         96
        .size:           4
        .value_kind:     by_value
      - .offset:         100
        .size:           4
        .value_kind:     by_value
      - .offset:         104
        .size:           1
        .value_kind:     by_value
      - .offset:         105
        .size:           1
        .value_kind:     by_value
    .group_segment_fixed_size: 0
    .kernarg_segment_align: 8
    .kernarg_segment_size: 108
    .language:       OpenCL C
    .language_version:
      - 2
      - 0
    .max_flat_workgroup_size: 1024
    .name:           _ZN9rocsparseL35csrgemm_symbolic_fill_block_per_rowILj1024ELj64ELj16384ELj137ELj64EllEEvT5_PKS1_S3_PKT4_S3_S6_S3_S6_S3_S6_PS1_21rocsparse_index_base_S8_S8_S8_bb
    .private_segment_fixed_size: 0
    .sgpr_count:     46
    .sgpr_spill_count: 0
    .symbol:         _ZN9rocsparseL35csrgemm_symbolic_fill_block_per_rowILj1024ELj64ELj16384ELj137ELj64EllEEvT5_PKS1_S3_PKT4_S3_S6_S3_S6_S3_S6_PS1_21rocsparse_index_base_S8_S8_S8_bb.kd
    .uniform_work_group_size: 1
    .uses_dynamic_stack: false
    .vgpr_count:     22
    .vgpr_spill_count: 0
    .wavefront_size: 32
    .workgroup_processor_mode: 1
  - .args:
      - .offset:         0
        .size:           8
        .value_kind:     by_value
      - .actual_access:  read_only
        .address_space:  global
        .offset:         8
        .size:           8
        .value_kind:     global_buffer
      - .actual_access:  read_only
        .address_space:  global
        .offset:         16
        .size:           8
        .value_kind:     global_buffer
      - .actual_access:  read_only
        .address_space:  global
        .offset:         24
        .size:           8
        .value_kind:     global_buffer
      - .actual_access:  read_only
        .address_space:  global
        .offset:         32
        .size:           8
        .value_kind:     global_buffer
      - .actual_access:  read_only
        .address_space:  global
        .offset:         40
        .size:           8
        .value_kind:     global_buffer
      - .actual_access:  read_only
        .address_space:  global
        .offset:         48
        .size:           8
        .value_kind:     global_buffer
      - .actual_access:  read_only
        .address_space:  global
        .offset:         56
        .size:           8
        .value_kind:     global_buffer
      - .actual_access:  read_only
        .address_space:  global
        .offset:         64
        .size:           8
        .value_kind:     global_buffer
      - .actual_access:  read_only
        .address_space:  global
        .offset:         72
        .size:           8
        .value_kind:     global_buffer
      - .actual_access:  write_only
        .address_space:  global
        .offset:         80
        .size:           8
        .value_kind:     global_buffer
      - .offset:         88
        .size:           4
        .value_kind:     by_value
      - .offset:         92
        .size:           4
        .value_kind:     by_value
      - .offset:         96
        .size:           4
        .value_kind:     by_value
      - .offset:         100
        .size:           4
        .value_kind:     by_value
      - .offset:         104
        .size:           1
        .value_kind:     by_value
      - .offset:         105
        .size:           1
        .value_kind:     by_value
    .group_segment_fixed_size: 0
    .kernarg_segment_align: 8
    .kernarg_segment_size: 108
    .language:       OpenCL C
    .language_version:
      - 2
      - 0
    .max_flat_workgroup_size: 1024
    .name:           _ZN9rocsparseL35csrgemm_symbolic_fill_block_per_rowILj1024ELj64ELj32768ELj137ELj32EllEEvT5_PKS1_S3_PKT4_S3_S6_S3_S6_S3_S6_PS1_21rocsparse_index_base_S8_S8_S8_bb
    .private_segment_fixed_size: 0
    .sgpr_count:     78
    .sgpr_spill_count: 0
    .symbol:         _ZN9rocsparseL35csrgemm_symbolic_fill_block_per_rowILj1024ELj64ELj32768ELj137ELj32EllEEvT5_PKS1_S3_PKT4_S3_S6_S3_S6_S3_S6_PS1_21rocsparse_index_base_S8_S8_S8_bb.kd
    .uniform_work_group_size: 1
    .uses_dynamic_stack: false
    .vgpr_count:     22
    .vgpr_spill_count: 0
    .wavefront_size: 32
    .workgroup_processor_mode: 1
  - .args:
      - .offset:         0
        .size:           8
        .value_kind:     by_value
      - .actual_access:  read_only
        .address_space:  global
        .offset:         8
        .size:           8
        .value_kind:     global_buffer
      - .actual_access:  read_only
        .address_space:  global
        .offset:         16
        .size:           8
        .value_kind:     global_buffer
      - .actual_access:  read_only
        .address_space:  global
        .offset:         24
        .size:           8
        .value_kind:     global_buffer
      - .actual_access:  read_only
        .address_space:  global
        .offset:         32
        .size:           8
        .value_kind:     global_buffer
      - .actual_access:  read_only
        .address_space:  global
        .offset:         40
        .size:           8
        .value_kind:     global_buffer
      - .actual_access:  read_only
        .address_space:  global
        .offset:         48
        .size:           8
        .value_kind:     global_buffer
      - .actual_access:  read_only
        .address_space:  global
        .offset:         56
        .size:           8
        .value_kind:     global_buffer
      - .actual_access:  read_only
        .address_space:  global
        .offset:         64
        .size:           8
        .value_kind:     global_buffer
      - .actual_access:  read_only
        .address_space:  global
        .offset:         72
        .size:           8
        .value_kind:     global_buffer
      - .actual_access:  write_only
        .address_space:  global
        .offset:         80
        .size:           8
        .value_kind:     global_buffer
      - .offset:         88
        .size:           4
        .value_kind:     by_value
      - .offset:         92
        .size:           4
        .value_kind:     by_value
      - .offset:         96
        .size:           4
        .value_kind:     by_value
      - .offset:         100
        .size:           4
        .value_kind:     by_value
      - .offset:         104
        .size:           1
        .value_kind:     by_value
      - .offset:         105
        .size:           1
        .value_kind:     by_value
    .group_segment_fixed_size: 0
    .kernarg_segment_align: 8
    .kernarg_segment_size: 108
    .language:       OpenCL C
    .language_version:
      - 2
      - 0
    .max_flat_workgroup_size: 1024
    .name:           _ZN9rocsparseL35csrgemm_symbolic_fill_block_per_rowILj1024ELj64ELj32768ELj137ELj64EllEEvT5_PKS1_S3_PKT4_S3_S6_S3_S6_S3_S6_PS1_21rocsparse_index_base_S8_S8_S8_bb
    .private_segment_fixed_size: 0
    .sgpr_count:     46
    .sgpr_spill_count: 0
    .symbol:         _ZN9rocsparseL35csrgemm_symbolic_fill_block_per_rowILj1024ELj64ELj32768ELj137ELj64EllEEvT5_PKS1_S3_PKT4_S3_S6_S3_S6_S3_S6_PS1_21rocsparse_index_base_S8_S8_S8_bb.kd
    .uniform_work_group_size: 1
    .uses_dynamic_stack: false
    .vgpr_count:     22
    .vgpr_spill_count: 0
    .wavefront_size: 32
    .workgroup_processor_mode: 1
  - .args:
      - .offset:         0
        .size:           8
        .value_kind:     by_value
      - .actual_access:  read_only
        .address_space:  global
        .offset:         8
        .size:           8
        .value_kind:     global_buffer
      - .actual_access:  read_only
        .address_space:  global
        .offset:         16
        .size:           8
        .value_kind:     global_buffer
      - .actual_access:  read_only
        .address_space:  global
        .offset:         24
        .size:           8
        .value_kind:     global_buffer
      - .actual_access:  read_only
        .address_space:  global
        .offset:         32
        .size:           8
        .value_kind:     global_buffer
      - .actual_access:  read_only
        .address_space:  global
        .offset:         40
        .size:           8
        .value_kind:     global_buffer
      - .actual_access:  read_only
        .address_space:  global
        .offset:         48
        .size:           8
        .value_kind:     global_buffer
      - .actual_access:  read_only
        .address_space:  global
        .offset:         56
        .size:           8
        .value_kind:     global_buffer
      - .actual_access:  read_only
        .address_space:  global
        .offset:         64
        .size:           8
        .value_kind:     global_buffer
      - .actual_access:  read_only
        .address_space:  global
        .offset:         72
        .size:           8
        .value_kind:     global_buffer
      - .actual_access:  write_only
        .address_space:  global
        .offset:         80
        .size:           8
        .value_kind:     global_buffer
      - .address_space:  global
        .offset:         88
        .size:           8
        .value_kind:     global_buffer
      - .offset:         96
        .size:           4
        .value_kind:     by_value
      - .offset:         100
        .size:           4
        .value_kind:     by_value
      - .offset:         104
        .size:           4
        .value_kind:     by_value
      - .offset:         108
        .size:           4
        .value_kind:     by_value
      - .offset:         112
        .size:           1
        .value_kind:     by_value
      - .offset:         113
        .size:           1
        .value_kind:     by_value
    .group_segment_fixed_size: 10248
    .kernarg_segment_align: 8
    .kernarg_segment_size: 116
    .language:       OpenCL C
    .language_version:
      - 2
      - 0
    .max_flat_workgroup_size: 512
    .name:           _ZN9rocsparseL45csrgemm_symbolic_fill_block_per_row_multipassILj512ELj16ELj2048ELj32EllEEvT4_PKS1_S3_PKT3_S3_S6_S3_S6_S3_S6_PS1_PS4_21rocsparse_index_base_S9_S9_S9_bb
    .private_segment_fixed_size: 0
    .sgpr_count:     55
    .sgpr_spill_count: 0
    .symbol:         _ZN9rocsparseL45csrgemm_symbolic_fill_block_per_row_multipassILj512ELj16ELj2048ELj32EllEEvT4_PKS1_S3_PKT3_S3_S6_S3_S6_S3_S6_PS1_PS4_21rocsparse_index_base_S9_S9_S9_bb.kd
    .uniform_work_group_size: 1
    .uses_dynamic_stack: false
    .vgpr_count:     41
    .vgpr_spill_count: 0
    .wavefront_size: 32
    .workgroup_processor_mode: 1
  - .args:
      - .offset:         0
        .size:           8
        .value_kind:     by_value
      - .actual_access:  read_only
        .address_space:  global
        .offset:         8
        .size:           8
        .value_kind:     global_buffer
      - .actual_access:  read_only
        .address_space:  global
        .offset:         16
        .size:           8
        .value_kind:     global_buffer
      - .actual_access:  read_only
        .address_space:  global
        .offset:         24
        .size:           8
        .value_kind:     global_buffer
      - .actual_access:  read_only
        .address_space:  global
        .offset:         32
        .size:           8
        .value_kind:     global_buffer
      - .actual_access:  read_only
        .address_space:  global
        .offset:         40
        .size:           8
        .value_kind:     global_buffer
      - .actual_access:  read_only
        .address_space:  global
        .offset:         48
        .size:           8
        .value_kind:     global_buffer
      - .actual_access:  read_only
        .address_space:  global
        .offset:         56
        .size:           8
        .value_kind:     global_buffer
      - .actual_access:  read_only
        .address_space:  global
        .offset:         64
        .size:           8
        .value_kind:     global_buffer
      - .actual_access:  read_only
        .address_space:  global
        .offset:         72
        .size:           8
        .value_kind:     global_buffer
      - .actual_access:  write_only
        .address_space:  global
        .offset:         80
        .size:           8
        .value_kind:     global_buffer
      - .address_space:  global
        .offset:         88
        .size:           8
        .value_kind:     global_buffer
      - .offset:         96
        .size:           4
        .value_kind:     by_value
      - .offset:         100
        .size:           4
        .value_kind:     by_value
      - .offset:         104
        .size:           4
        .value_kind:     by_value
      - .offset:         108
        .size:           4
        .value_kind:     by_value
      - .offset:         112
        .size:           1
        .value_kind:     by_value
      - .offset:         113
        .size:           1
        .value_kind:     by_value
    .group_segment_fixed_size: 10248
    .kernarg_segment_align: 8
    .kernarg_segment_size: 116
    .language:       OpenCL C
    .language_version:
      - 2
      - 0
    .max_flat_workgroup_size: 512
    .name:           _ZN9rocsparseL45csrgemm_symbolic_fill_block_per_row_multipassILj512ELj16ELj2048ELj64EllEEvT4_PKS1_S3_PKT3_S3_S6_S3_S6_S3_S6_PS1_PS4_21rocsparse_index_base_S9_S9_S9_bb
    .private_segment_fixed_size: 0
    .sgpr_count:     47
    .sgpr_spill_count: 0
    .symbol:         _ZN9rocsparseL45csrgemm_symbolic_fill_block_per_row_multipassILj512ELj16ELj2048ELj64EllEEvT4_PKS1_S3_PKT3_S3_S6_S3_S6_S3_S6_PS1_PS4_21rocsparse_index_base_S9_S9_S9_bb.kd
    .uniform_work_group_size: 1
    .uses_dynamic_stack: false
    .vgpr_count:     41
    .vgpr_spill_count: 0
    .wavefront_size: 32
    .workgroup_processor_mode: 1
amdhsa.target:   amdgcn-amd-amdhsa--gfx1030
amdhsa.version:
  - 1
  - 2
...

	.end_amdgpu_metadata
